;; amdgpu-corpus repo=ROCm/rocFFT kind=compiled arch=gfx1201 opt=O3
	.text
	.amdgcn_target "amdgcn-amd-amdhsa--gfx1201"
	.amdhsa_code_object_version 6
	.protected	fft_rtc_fwd_len476_factors_17_2_7_2_wgs_102_tpt_34_halfLds_half_ip_CI_unitstride_sbrr_R2C_dirReg ; -- Begin function fft_rtc_fwd_len476_factors_17_2_7_2_wgs_102_tpt_34_halfLds_half_ip_CI_unitstride_sbrr_R2C_dirReg
	.globl	fft_rtc_fwd_len476_factors_17_2_7_2_wgs_102_tpt_34_halfLds_half_ip_CI_unitstride_sbrr_R2C_dirReg
	.p2align	8
	.type	fft_rtc_fwd_len476_factors_17_2_7_2_wgs_102_tpt_34_halfLds_half_ip_CI_unitstride_sbrr_R2C_dirReg,@function
fft_rtc_fwd_len476_factors_17_2_7_2_wgs_102_tpt_34_halfLds_half_ip_CI_unitstride_sbrr_R2C_dirReg: ; @fft_rtc_fwd_len476_factors_17_2_7_2_wgs_102_tpt_34_halfLds_half_ip_CI_unitstride_sbrr_R2C_dirReg
; %bb.0:
	s_load_b128 s[4:7], s[0:1], 0x0
	v_mul_u32_u24_e32 v1, 0x788, v0
	s_clause 0x1
	s_load_b64 s[8:9], s[0:1], 0x50
	s_load_b64 s[10:11], s[0:1], 0x18
	v_mov_b32_e32 v5, 0
	v_lshrrev_b32_e32 v1, 16, v1
	s_delay_alu instid0(VALU_DEP_1) | instskip(SKIP_3) | instid1(VALU_DEP_1)
	v_mad_co_u64_u32 v[1:2], null, ttmp9, 3, v[1:2]
	v_mov_b32_e32 v3, 0
	v_mov_b32_e32 v4, 0
	;; [unrolled: 1-line block ×4, first 2 shown]
	s_wait_kmcnt 0x0
	v_cmp_lt_u64_e64 s2, s[6:7], 2
	v_mov_b32_e32 v9, v1
	s_delay_alu instid0(VALU_DEP_2)
	s_and_b32 vcc_lo, exec_lo, s2
	s_cbranch_vccnz .LBB0_8
; %bb.1:
	s_load_b64 s[2:3], s[0:1], 0x10
	v_dual_mov_b32 v3, 0 :: v_dual_mov_b32 v8, v2
	v_dual_mov_b32 v4, 0 :: v_dual_mov_b32 v7, v1
	s_add_nc_u64 s[12:13], s[10:11], 8
	s_mov_b64 s[14:15], 1
	s_wait_kmcnt 0x0
	s_add_nc_u64 s[16:17], s[2:3], 8
	s_mov_b32 s3, 0
.LBB0_2:                                ; =>This Inner Loop Header: Depth=1
	s_load_b64 s[18:19], s[16:17], 0x0
                                        ; implicit-def: $vgpr9_vgpr10
	s_mov_b32 s2, exec_lo
	s_wait_kmcnt 0x0
	v_or_b32_e32 v6, s19, v8
	s_delay_alu instid0(VALU_DEP_1)
	v_cmpx_ne_u64_e32 0, v[5:6]
	s_wait_alu 0xfffe
	s_xor_b32 s20, exec_lo, s2
	s_cbranch_execz .LBB0_4
; %bb.3:                                ;   in Loop: Header=BB0_2 Depth=1
	s_cvt_f32_u32 s2, s18
	s_cvt_f32_u32 s21, s19
	s_sub_nc_u64 s[24:25], 0, s[18:19]
	s_wait_alu 0xfffe
	s_delay_alu instid0(SALU_CYCLE_1) | instskip(SKIP_1) | instid1(SALU_CYCLE_2)
	s_fmamk_f32 s2, s21, 0x4f800000, s2
	s_wait_alu 0xfffe
	v_s_rcp_f32 s2, s2
	s_delay_alu instid0(TRANS32_DEP_1) | instskip(SKIP_1) | instid1(SALU_CYCLE_2)
	s_mul_f32 s2, s2, 0x5f7ffffc
	s_wait_alu 0xfffe
	s_mul_f32 s21, s2, 0x2f800000
	s_wait_alu 0xfffe
	s_delay_alu instid0(SALU_CYCLE_2) | instskip(SKIP_1) | instid1(SALU_CYCLE_2)
	s_trunc_f32 s21, s21
	s_wait_alu 0xfffe
	s_fmamk_f32 s2, s21, 0xcf800000, s2
	s_cvt_u32_f32 s23, s21
	s_wait_alu 0xfffe
	s_delay_alu instid0(SALU_CYCLE_1) | instskip(SKIP_1) | instid1(SALU_CYCLE_2)
	s_cvt_u32_f32 s22, s2
	s_wait_alu 0xfffe
	s_mul_u64 s[26:27], s[24:25], s[22:23]
	s_wait_alu 0xfffe
	s_mul_hi_u32 s29, s22, s27
	s_mul_i32 s28, s22, s27
	s_mul_hi_u32 s2, s22, s26
	s_mul_i32 s30, s23, s26
	s_wait_alu 0xfffe
	s_add_nc_u64 s[28:29], s[2:3], s[28:29]
	s_mul_hi_u32 s21, s23, s26
	s_mul_hi_u32 s31, s23, s27
	s_add_co_u32 s2, s28, s30
	s_wait_alu 0xfffe
	s_add_co_ci_u32 s2, s29, s21
	s_mul_i32 s26, s23, s27
	s_add_co_ci_u32 s27, s31, 0
	s_wait_alu 0xfffe
	s_add_nc_u64 s[26:27], s[2:3], s[26:27]
	s_wait_alu 0xfffe
	v_add_co_u32 v2, s2, s22, s26
	s_delay_alu instid0(VALU_DEP_1) | instskip(SKIP_1) | instid1(VALU_DEP_1)
	s_cmp_lg_u32 s2, 0
	s_add_co_ci_u32 s23, s23, s27
	v_readfirstlane_b32 s22, v2
	s_wait_alu 0xfffe
	s_delay_alu instid0(VALU_DEP_1)
	s_mul_u64 s[24:25], s[24:25], s[22:23]
	s_wait_alu 0xfffe
	s_mul_hi_u32 s27, s22, s25
	s_mul_i32 s26, s22, s25
	s_mul_hi_u32 s2, s22, s24
	s_mul_i32 s28, s23, s24
	s_wait_alu 0xfffe
	s_add_nc_u64 s[26:27], s[2:3], s[26:27]
	s_mul_hi_u32 s21, s23, s24
	s_mul_hi_u32 s22, s23, s25
	s_wait_alu 0xfffe
	s_add_co_u32 s2, s26, s28
	s_add_co_ci_u32 s2, s27, s21
	s_mul_i32 s24, s23, s25
	s_add_co_ci_u32 s25, s22, 0
	s_wait_alu 0xfffe
	s_add_nc_u64 s[24:25], s[2:3], s[24:25]
	s_wait_alu 0xfffe
	v_add_co_u32 v2, s2, v2, s24
	s_delay_alu instid0(VALU_DEP_1) | instskip(SKIP_1) | instid1(VALU_DEP_1)
	s_cmp_lg_u32 s2, 0
	s_add_co_ci_u32 s2, s23, s25
	v_mul_hi_u32 v6, v7, v2
	s_wait_alu 0xfffe
	v_mad_co_u64_u32 v[9:10], null, v7, s2, 0
	v_mad_co_u64_u32 v[11:12], null, v8, v2, 0
	;; [unrolled: 1-line block ×3, first 2 shown]
	s_delay_alu instid0(VALU_DEP_3) | instskip(SKIP_1) | instid1(VALU_DEP_4)
	v_add_co_u32 v2, vcc_lo, v6, v9
	s_wait_alu 0xfffd
	v_add_co_ci_u32_e32 v6, vcc_lo, 0, v10, vcc_lo
	s_delay_alu instid0(VALU_DEP_2) | instskip(SKIP_1) | instid1(VALU_DEP_2)
	v_add_co_u32 v2, vcc_lo, v2, v11
	s_wait_alu 0xfffd
	v_add_co_ci_u32_e32 v2, vcc_lo, v6, v12, vcc_lo
	s_wait_alu 0xfffd
	v_add_co_ci_u32_e32 v6, vcc_lo, 0, v14, vcc_lo
	s_delay_alu instid0(VALU_DEP_2) | instskip(SKIP_1) | instid1(VALU_DEP_2)
	v_add_co_u32 v2, vcc_lo, v2, v13
	s_wait_alu 0xfffd
	v_add_co_ci_u32_e32 v6, vcc_lo, 0, v6, vcc_lo
	s_delay_alu instid0(VALU_DEP_2) | instskip(SKIP_1) | instid1(VALU_DEP_3)
	v_mul_lo_u32 v11, s19, v2
	v_mad_co_u64_u32 v[9:10], null, s18, v2, 0
	v_mul_lo_u32 v12, s18, v6
	s_delay_alu instid0(VALU_DEP_2) | instskip(NEXT) | instid1(VALU_DEP_2)
	v_sub_co_u32 v9, vcc_lo, v7, v9
	v_add3_u32 v10, v10, v12, v11
	s_delay_alu instid0(VALU_DEP_1) | instskip(SKIP_1) | instid1(VALU_DEP_1)
	v_sub_nc_u32_e32 v11, v8, v10
	s_wait_alu 0xfffd
	v_subrev_co_ci_u32_e64 v11, s2, s19, v11, vcc_lo
	v_add_co_u32 v12, s2, v2, 2
	s_wait_alu 0xf1ff
	v_add_co_ci_u32_e64 v13, s2, 0, v6, s2
	v_sub_co_u32 v14, s2, v9, s18
	v_sub_co_ci_u32_e32 v10, vcc_lo, v8, v10, vcc_lo
	s_wait_alu 0xf1ff
	v_subrev_co_ci_u32_e64 v11, s2, 0, v11, s2
	s_delay_alu instid0(VALU_DEP_3) | instskip(NEXT) | instid1(VALU_DEP_3)
	v_cmp_le_u32_e32 vcc_lo, s18, v14
	v_cmp_eq_u32_e64 s2, s19, v10
	s_wait_alu 0xfffd
	v_cndmask_b32_e64 v14, 0, -1, vcc_lo
	v_cmp_le_u32_e32 vcc_lo, s19, v11
	s_wait_alu 0xfffd
	v_cndmask_b32_e64 v15, 0, -1, vcc_lo
	v_cmp_le_u32_e32 vcc_lo, s18, v9
	;; [unrolled: 3-line block ×3, first 2 shown]
	s_wait_alu 0xfffd
	v_cndmask_b32_e64 v16, 0, -1, vcc_lo
	v_cmp_eq_u32_e32 vcc_lo, s19, v11
	s_wait_alu 0xf1ff
	s_delay_alu instid0(VALU_DEP_2)
	v_cndmask_b32_e64 v9, v16, v9, s2
	s_wait_alu 0xfffd
	v_cndmask_b32_e32 v11, v15, v14, vcc_lo
	v_add_co_u32 v14, vcc_lo, v2, 1
	s_wait_alu 0xfffd
	v_add_co_ci_u32_e32 v15, vcc_lo, 0, v6, vcc_lo
	s_delay_alu instid0(VALU_DEP_3) | instskip(SKIP_1) | instid1(VALU_DEP_2)
	v_cmp_ne_u32_e32 vcc_lo, 0, v11
	s_wait_alu 0xfffd
	v_dual_cndmask_b32 v10, v15, v13 :: v_dual_cndmask_b32 v11, v14, v12
	v_cmp_ne_u32_e32 vcc_lo, 0, v9
	s_wait_alu 0xfffd
	s_delay_alu instid0(VALU_DEP_2) | instskip(NEXT) | instid1(VALU_DEP_3)
	v_cndmask_b32_e32 v10, v6, v10, vcc_lo
	v_cndmask_b32_e32 v9, v2, v11, vcc_lo
.LBB0_4:                                ;   in Loop: Header=BB0_2 Depth=1
	s_wait_alu 0xfffe
	s_and_not1_saveexec_b32 s2, s20
	s_cbranch_execz .LBB0_6
; %bb.5:                                ;   in Loop: Header=BB0_2 Depth=1
	v_cvt_f32_u32_e32 v2, s18
	s_sub_co_i32 s20, 0, s18
	s_delay_alu instid0(VALU_DEP_1) | instskip(NEXT) | instid1(TRANS32_DEP_1)
	v_rcp_iflag_f32_e32 v2, v2
	v_mul_f32_e32 v2, 0x4f7ffffe, v2
	s_delay_alu instid0(VALU_DEP_1) | instskip(SKIP_1) | instid1(VALU_DEP_1)
	v_cvt_u32_f32_e32 v2, v2
	s_wait_alu 0xfffe
	v_mul_lo_u32 v6, s20, v2
	s_delay_alu instid0(VALU_DEP_1) | instskip(NEXT) | instid1(VALU_DEP_1)
	v_mul_hi_u32 v6, v2, v6
	v_add_nc_u32_e32 v2, v2, v6
	s_delay_alu instid0(VALU_DEP_1) | instskip(NEXT) | instid1(VALU_DEP_1)
	v_mul_hi_u32 v2, v7, v2
	v_mul_lo_u32 v6, v2, s18
	v_add_nc_u32_e32 v9, 1, v2
	s_delay_alu instid0(VALU_DEP_2) | instskip(NEXT) | instid1(VALU_DEP_1)
	v_sub_nc_u32_e32 v6, v7, v6
	v_subrev_nc_u32_e32 v10, s18, v6
	v_cmp_le_u32_e32 vcc_lo, s18, v6
	s_wait_alu 0xfffd
	s_delay_alu instid0(VALU_DEP_2) | instskip(SKIP_2) | instid1(VALU_DEP_3)
	v_cndmask_b32_e32 v6, v6, v10, vcc_lo
	v_mov_b32_e32 v10, v5
	v_cndmask_b32_e32 v2, v2, v9, vcc_lo
	v_cmp_le_u32_e32 vcc_lo, s18, v6
	s_delay_alu instid0(VALU_DEP_2) | instskip(SKIP_1) | instid1(VALU_DEP_1)
	v_add_nc_u32_e32 v9, 1, v2
	s_wait_alu 0xfffd
	v_cndmask_b32_e32 v9, v2, v9, vcc_lo
.LBB0_6:                                ;   in Loop: Header=BB0_2 Depth=1
	s_wait_alu 0xfffe
	s_or_b32 exec_lo, exec_lo, s2
	s_load_b64 s[20:21], s[12:13], 0x0
	v_mul_lo_u32 v2, v10, s18
	v_mul_lo_u32 v6, v9, s19
	v_mad_co_u64_u32 v[11:12], null, v9, s18, 0
	s_add_nc_u64 s[14:15], s[14:15], 1
	s_add_nc_u64 s[12:13], s[12:13], 8
	s_wait_alu 0xfffe
	v_cmp_ge_u64_e64 s2, s[14:15], s[6:7]
	s_add_nc_u64 s[16:17], s[16:17], 8
	s_delay_alu instid0(VALU_DEP_2) | instskip(NEXT) | instid1(VALU_DEP_3)
	v_add3_u32 v2, v12, v6, v2
	v_sub_co_u32 v6, vcc_lo, v7, v11
	s_wait_alu 0xfffd
	s_delay_alu instid0(VALU_DEP_2) | instskip(SKIP_3) | instid1(VALU_DEP_2)
	v_sub_co_ci_u32_e32 v2, vcc_lo, v8, v2, vcc_lo
	s_and_b32 vcc_lo, exec_lo, s2
	s_wait_kmcnt 0x0
	v_mul_lo_u32 v7, s21, v6
	v_mul_lo_u32 v2, s20, v2
	v_mad_co_u64_u32 v[3:4], null, s20, v6, v[3:4]
	s_delay_alu instid0(VALU_DEP_1)
	v_add3_u32 v4, v7, v4, v2
	s_wait_alu 0xfffe
	s_cbranch_vccnz .LBB0_8
; %bb.7:                                ;   in Loop: Header=BB0_2 Depth=1
	v_dual_mov_b32 v7, v9 :: v_dual_mov_b32 v8, v10
	s_branch .LBB0_2
.LBB0_8:
	s_lshl_b64 s[2:3], s[6:7], 3
	v_mul_hi_u32 v2, 0xaaaaaaab, v1
	s_wait_alu 0xfffe
	s_add_nc_u64 s[2:3], s[10:11], s[2:3]
	s_load_b64 s[0:1], s[0:1], 0x20
	s_load_b64 s[2:3], s[2:3], 0x0
	v_mul_hi_u32 v5, 0x7878788, v0
	s_delay_alu instid0(VALU_DEP_2) | instskip(NEXT) | instid1(VALU_DEP_1)
	v_lshrrev_b32_e32 v2, 1, v2
	v_lshl_add_u32 v6, v2, 1, v2
	s_delay_alu instid0(VALU_DEP_1)
	v_sub_nc_u32_e32 v1, v1, v6
	s_wait_kmcnt 0x0
	v_cmp_gt_u64_e32 vcc_lo, s[0:1], v[9:10]
	v_mul_lo_u32 v7, s2, v10
	v_mul_lo_u32 v8, s3, v9
	v_mad_co_u64_u32 v[2:3], null, s2, v9, v[3:4]
	v_mul_u32_u24_e32 v4, 34, v5
	v_mul_u32_u24_e32 v1, 0x1dd, v1
	s_delay_alu instid0(VALU_DEP_2) | instskip(NEXT) | instid1(VALU_DEP_4)
	v_sub_nc_u32_e32 v0, v0, v4
	v_add3_u32 v3, v8, v3, v7
	s_delay_alu instid0(VALU_DEP_3) | instskip(NEXT) | instid1(VALU_DEP_3)
	v_lshlrev_b32_e32 v26, 2, v1
	v_lshlrev_b32_e32 v21, 2, v0
	s_delay_alu instid0(VALU_DEP_3)
	v_lshlrev_b64_e32 v[2:3], 2, v[2:3]
	s_and_saveexec_b32 s1, vcc_lo
	s_cbranch_execz .LBB0_10
; %bb.9:
	v_mov_b32_e32 v1, 0
	s_delay_alu instid0(VALU_DEP_1) | instskip(NEXT) | instid1(VALU_DEP_3)
	v_lshlrev_b64_e32 v[4:5], 2, v[0:1]
	v_add_co_u32 v1, s0, s8, v2
	s_wait_alu 0xf1ff
	v_add_co_ci_u32_e64 v6, s0, s9, v3, s0
	s_delay_alu instid0(VALU_DEP_2) | instskip(SKIP_1) | instid1(VALU_DEP_2)
	v_add_co_u32 v4, s0, v1, v4
	s_wait_alu 0xf1ff
	v_add_co_ci_u32_e64 v5, s0, v6, v5, s0
	s_clause 0xd
	global_load_b32 v1, v[4:5], off
	global_load_b32 v6, v[4:5], off offset:136
	global_load_b32 v7, v[4:5], off offset:272
	global_load_b32 v8, v[4:5], off offset:408
	global_load_b32 v9, v[4:5], off offset:544
	global_load_b32 v10, v[4:5], off offset:680
	global_load_b32 v11, v[4:5], off offset:816
	global_load_b32 v12, v[4:5], off offset:952
	global_load_b32 v13, v[4:5], off offset:1088
	global_load_b32 v14, v[4:5], off offset:1224
	global_load_b32 v15, v[4:5], off offset:1360
	global_load_b32 v16, v[4:5], off offset:1496
	global_load_b32 v17, v[4:5], off offset:1632
	global_load_b32 v4, v[4:5], off offset:1768
	v_add3_u32 v5, 0, v26, v21
	s_delay_alu instid0(VALU_DEP_1)
	v_add_nc_u32_e32 v18, 0x400, v5
	s_wait_loadcnt 0xc
	ds_store_2addr_b32 v5, v1, v6 offset1:34
	s_wait_loadcnt 0xa
	ds_store_2addr_b32 v5, v7, v8 offset0:68 offset1:102
	s_wait_loadcnt 0x8
	ds_store_2addr_b32 v5, v9, v10 offset0:136 offset1:170
	;; [unrolled: 2-line block ×6, first 2 shown]
.LBB0_10:
	s_wait_alu 0xfffe
	s_or_b32 exec_lo, exec_lo, s1
	v_add_nc_u32_e32 v1, 0, v21
	v_add_nc_u32_e32 v22, 0, v26
	global_wb scope:SCOPE_SE
	s_wait_dscnt 0x0
	s_barrier_signal -1
	s_barrier_wait -1
	v_add_nc_u32_e32 v23, v1, v26
	v_add_nc_u32_e32 v20, v22, v21
	global_inv scope:SCOPE_SE
	s_mov_b32 s1, exec_lo
	ds_load_2addr_b32 v[18:19], v23 offset0:28 offset1:56
	ds_load_b32 v1, v20
	v_add_nc_u32_e32 v25, 0x200, v23
	v_add_nc_u32_e32 v24, 0x400, v23
	ds_load_2addr_b32 v[16:17], v23 offset0:84 offset1:112
	ds_load_2addr_b32 v[14:15], v23 offset0:140 offset1:168
	ds_load_2addr_b32 v[12:13], v23 offset0:196 offset1:224
	ds_load_2addr_b32 v[10:11], v25 offset0:124 offset1:152
	ds_load_2addr_b32 v[8:9], v24 offset0:52 offset1:80
	ds_load_2addr_b32 v[6:7], v24 offset0:108 offset1:136
	ds_load_2addr_b32 v[4:5], v24 offset0:164 offset1:192
	global_wb scope:SCOPE_SE
	s_wait_dscnt 0x0
	s_barrier_signal -1
	s_barrier_wait -1
	global_inv scope:SCOPE_SE
	v_cmpx_gt_u32_e32 28, v0
	s_cbranch_execz .LBB0_12
; %bb.11:
	v_pk_add_f16 v27, v1, v18
	v_pk_add_f16 v36, v5, v18
	;; [unrolled: 1-line block ×3, first 2 shown]
	v_pk_add_f16 v18, v18, v5 neg_lo:[0,1] neg_hi:[0,1]
	v_pk_add_f16 v30, v7, v16
	v_pk_add_f16 v28, v27, v19
	v_lshrrev_b32_e32 v44, 16, v36
	v_lshrrev_b32_e32 v43, 16, v37
	;; [unrolled: 1-line block ×3, first 2 shown]
	v_pk_add_f16 v19, v19, v4 neg_lo:[0,1] neg_hi:[0,1]
	v_pk_add_f16 v29, v28, v16
	v_mul_f16_e32 v68, 0x2de8, v44
	v_pk_add_f16 v31, v6, v17
	v_pk_add_f16 v32, v9, v14
	v_pk_add_f16 v28, v14, v9 neg_lo:[0,1] neg_hi:[0,1]
	v_pk_add_f16 v39, v29, v17
	v_pk_add_f16 v35, v10, v13
	v_lshrrev_b32_e32 v42, 16, v30
	v_mul_f16_e32 v69, 0xbbdd, v43
	v_pk_add_f16 v27, v16, v7 neg_lo:[0,1] neg_hi:[0,1]
	v_pk_add_f16 v39, v39, v14
	v_pk_add_f16 v14, v13, v10 neg_lo:[0,1] neg_hi:[0,1]
	v_pk_add_f16 v34, v11, v12
	v_pk_add_f16 v29, v12, v11 neg_lo:[0,1] neg_hi:[0,1]
	v_lshrrev_b32_e32 v41, 16, v31
	v_pk_add_f16 v45, v39, v15
	v_mul_f16_e32 v67, 0xb461, v42
	v_fmamk_f16 v50, v19, 0x31e1, v69
	v_pk_add_f16 v16, v17, v6 neg_lo:[0,1] neg_hi:[0,1]
	v_pk_add_f16 v33, v8, v15
	v_pk_add_f16 v45, v45, v12
	v_pk_add_f16 v17, v15, v8 neg_lo:[0,1] neg_hi:[0,1]
	v_lshrrev_b32_e32 v40, 16, v32
	v_lshrrev_b32_e32 v48, 16, v18
	v_mul_f16_e32 v62, 0x3b76, v41
	v_pk_add_f16 v49, v45, v13
	v_lshrrev_b32_e32 v39, 16, v33
	v_lshrrev_b32_e32 v47, 16, v19
	v_mul_f16_e32 v59, 0x3722, v40
	v_mul_f16_e32 v66, 0xbbf7, v48
	v_pk_add_f16 v10, v49, v10
	v_fmamk_f16 v49, v18, 0x3bf7, v68
	v_lshrrev_b32_e32 v15, 16, v34
	v_lshrrev_b32_e32 v46, 16, v27
	v_mul_f16_e32 v57, 0xbacd, v39
	v_pk_add_f16 v10, v10, v11
	v_add_f16_e32 v11, v38, v49
	v_fmamk_f16 v49, v27, 0xbbb2, v67
	v_mul_f16_e32 v65, 0xb1e1, v47
	v_lshrrev_b32_e32 v45, 16, v16
	v_pk_add_f16 v8, v10, v8
	v_add_f16_e32 v10, v50, v11
	v_fmamk_f16 v11, v16, 0xb5c8, v62
	v_mul_f16_e32 v56, 0xb8d2, v15
	v_mul_f16_e32 v60, 0x3bb2, v46
	v_pk_add_f16 v8, v8, v9
	v_add_f16_e32 v9, v49, v10
	v_fmamk_f16 v10, v28, 0x3b29, v59
	v_fmamk_f16 v49, v37, 0xbbdd, v65
	v_lshrrev_b32_e32 v13, 16, v28
	v_pk_add_f16 v6, v8, v6
	v_add_f16_e32 v8, v11, v9
	v_fmamk_f16 v9, v36, 0x2de8, v66
	v_fmamk_f16 v11, v17, 0x3836, v57
	v_mul_f16_e32 v63, 0x35c8, v45
	v_pk_add_f16 v6, v6, v7
	v_add_f16_e32 v7, v10, v8
	v_add_f16_e32 v8, v1, v9
	v_fmamk_f16 v9, v29, 0xba62, v56
	v_fmamk_f16 v10, v30, 0xb461, v60
	v_pk_add_f16 v4, v6, v4
	v_add_f16_e32 v6, v11, v7
	v_add_f16_e32 v7, v49, v8
	v_lshrrev_b32_e32 v12, 16, v35
	v_mul_f16_e32 v64, 0xbb29, v13
	v_pk_add_f16 v4, v4, v5
	v_add_f16_e32 v5, v9, v6
	v_add_f16_e32 v6, v10, v7
	v_fmamk_f16 v7, v31, 0x3b76, v63
	v_lshrrev_b32_e32 v50, 16, v17
	v_mul_f16_e32 v55, 0xb461, v44
	v_mul_f16_e32 v58, 0x39e9, v12
	v_lshrrev_b32_e32 v10, 16, v29
	v_add_f16_e32 v6, v7, v6
	v_fmamk_f16 v7, v32, 0x3722, v64
	v_mul_f16_e32 v70, 0xb836, v50
	v_fmamk_f16 v9, v18, 0x3bb2, v55
	v_mul_f16_e32 v61, 0xbacd, v43
	v_fmamk_f16 v8, v14, 0xb964, v58
	v_add_f16_e32 v6, v7, v6
	v_fmamk_f16 v7, v33, 0xbacd, v70
	v_mul_f16_e32 v71, 0x3a62, v10
	v_add_f16_e32 v9, v38, v9
	v_fmamk_f16 v11, v19, 0xb836, v61
	v_mul_f16_e32 v73, 0x39e9, v42
	v_add_f16_e32 v5, v8, v5
	v_add_f16_e32 v6, v7, v6
	v_fmamk_f16 v7, v34, 0xb8d2, v71
	v_add_f16_e32 v8, v11, v9
	v_fmamk_f16 v9, v27, 0xb964, v73
	v_mul_f16_e32 v74, 0x3722, v41
	v_mul_f16_e32 v75, 0xbbb2, v48
	v_add_f16_e32 v6, v7, v6
	v_mul_f16_e32 v76, 0xbbdd, v40
	v_add_f16_e32 v7, v9, v8
	v_fmamk_f16 v8, v16, 0x3b29, v74
	v_fmamk_f16 v9, v36, 0xb461, v75
	v_mul_f16_e32 v77, 0x3836, v47
	v_mul_f16_e32 v78, 0x2de8, v39
	;; [unrolled: 1-line block ×3, first 2 shown]
	v_add_f16_e32 v7, v8, v7
	v_fmamk_f16 v8, v28, 0x31e1, v76
	v_add_f16_e32 v9, v1, v9
	v_fmamk_f16 v49, v37, 0xbacd, v77
	v_mul_f16_e32 v80, 0x3b76, v15
	v_mul_f16_e32 v81, 0xbb29, v45
	v_add_f16_e32 v7, v8, v7
	v_fmamk_f16 v8, v17, 0xbbf7, v78
	v_add_f16_e32 v9, v49, v9
	v_fmamk_f16 v49, v30, 0x39e9, v79
	v_mul_f16_e32 v82, 0xb1e1, v13
	v_mul_f16_e32 v53, 0xb8d2, v44
	v_add_f16_e32 v7, v8, v7
	v_fmamk_f16 v8, v29, 0x35c8, v80
	v_add_f16_e32 v9, v49, v9
	v_fmamk_f16 v49, v31, 0x3722, v81
	v_mul_f16_e32 v54, 0xb461, v43
	v_lshrrev_b32_e32 v11, 16, v14
	v_add_f16_e32 v7, v8, v7
	v_mul_f16_e32 v85, 0x3b76, v42
	v_add_f16_e32 v8, v49, v9
	v_fmamk_f16 v9, v32, 0xbbdd, v82
	v_fmamk_f16 v49, v18, 0x3a62, v53
	v_mul_f16_e32 v72, 0x3964, v11
	v_mul_f16_e32 v84, 0xb8d2, v12
	;; [unrolled: 1-line block ×3, first 2 shown]
	v_add_f16_e32 v8, v9, v8
	v_add_f16_e32 v9, v38, v49
	v_fmamk_f16 v49, v19, 0xbbb2, v54
	v_fmamk_f16 v51, v35, 0x39e9, v72
	v_mul_f16_e32 v83, 0x3bf7, v50
	v_fmamk_f16 v52, v14, 0x3a62, v84
	v_mul_f16_e32 v88, 0xba62, v48
	v_add_f16_e32 v9, v49, v9
	v_fmamk_f16 v49, v27, 0x35c8, v85
	v_mul_f16_e32 v89, 0x2de8, v40
	v_add_f16_e32 v6, v51, v6
	;; [unrolled: 3-line block ×3, first 2 shown]
	v_fmamk_f16 v49, v16, 0x3836, v87
	v_add_f16_e32 v7, v52, v7
	v_fmamk_f16 v52, v36, 0xb8d2, v88
	v_mul_f16_e32 v90, 0x3bb2, v47
	v_mul_f16_e32 v91, 0x39e9, v39
	v_add_f16_e32 v9, v49, v9
	v_fmamk_f16 v49, v28, 0xbbf7, v89
	v_add_f16_e32 v8, v51, v8
	v_fmamk_f16 v51, v34, 0x3b76, v86
	;; [unrolled: 2-line block ×3, first 2 shown]
	v_add_f16_e32 v9, v49, v9
	v_mul_f16_e32 v93, 0xb5c8, v46
	v_fmamk_f16 v49, v17, 0x3964, v91
	v_mul_f16_e32 v94, 0xbbdd, v15
	v_add_f16_e32 v8, v51, v8
	v_add_f16_e32 v51, v92, v52
	v_mul_f16_e32 v92, 0xba62, v11
	v_fmamk_f16 v52, v30, 0x3b76, v93
	v_mul_f16_e32 v95, 0xb836, v45
	v_add_f16_e32 v9, v49, v9
	v_fmamk_f16 v96, v29, 0x31e1, v94
	v_fmamk_f16 v49, v35, 0xb8d2, v92
	v_add_f16_e32 v51, v52, v51
	v_fmamk_f16 v52, v31, 0xbacd, v95
	v_mul_f16_e32 v97, 0xbacd, v44
	v_add_f16_e32 v9, v96, v9
	v_mul_f16_e32 v96, 0x3bf7, v13
	v_add_f16_e32 v8, v49, v8
	v_add_f16_e32 v49, v52, v51
	v_fmamk_f16 v51, v18, 0x3836, v97
	v_mul_f16_e32 v52, 0x3722, v43
	v_fmamk_f16 v99, v32, 0x2de8, v96
	v_mul_f16_e32 v100, 0xb964, v50
	v_mul_f16_e32 v102, 0x2de8, v42
	v_add_f16_e32 v51, v38, v51
	v_fmamk_f16 v101, v19, 0xbb29, v52
	v_add_f16_e32 v49, v99, v49
	v_fmamk_f16 v99, v33, 0x39e9, v100
	v_mul_f16_e32 v103, 0xb1e1, v10
	v_mul_f16_e32 v98, 0x3722, v12
	v_add_f16_e32 v51, v101, v51
	v_fmamk_f16 v101, v27, 0x3bf7, v102
	v_mul_f16_e32 v104, 0xb8d2, v41
	v_add_f16_e32 v49, v99, v49
	v_fmamk_f16 v99, v34, 0xbbdd, v103
	v_fmamk_f16 v105, v14, 0xbb29, v98
	v_add_f16_e32 v51, v101, v51
	v_fmamk_f16 v101, v16, 0xba62, v104
	v_mul_f16_e32 v106, 0x3b76, v40
	v_add_f16_e32 v49, v99, v49
	v_mul_f16_e32 v99, 0xb836, v48
	v_add_f16_e32 v9, v105, v9
	v_add_f16_e32 v51, v101, v51
	v_fmamk_f16 v101, v28, 0x35c8, v106
	v_mul_f16_e32 v105, 0xbbdd, v39
	v_fmamk_f16 v108, v36, 0xbacd, v99
	v_mul_f16_e32 v109, 0x3b29, v47
	v_mul_f16_e32 v110, 0x39e9, v15
	v_add_f16_e32 v51, v101, v51
	v_fmamk_f16 v101, v17, 0x31e1, v105
	v_add_f16_e32 v108, v1, v108
	v_fmamk_f16 v111, v37, 0x3722, v109
	v_mul_f16_e32 v112, 0xbbf7, v46
	v_mul_f16_e32 v114, 0x3a62, v45
	v_add_f16_e32 v51, v101, v51
	v_fmamk_f16 v101, v29, 0xb964, v110
	v_add_f16_e32 v108, v111, v108
	v_fmamk_f16 v111, v30, 0x2de8, v112
	v_fmac_f16_e32 v97, 0xb836, v18
	v_fmac_f16_e32 v52, 0x3b29, v19
	v_add_f16_e32 v51, v101, v51
	v_mul_f16_e32 v115, 0xb1e1, v50
	v_add_f16_e32 v101, v111, v108
	v_fmamk_f16 v108, v31, 0xb8d2, v114
	v_mul_f16_e32 v111, 0xb5c8, v13
	v_add_f16_e32 v97, v38, v97
	v_fmac_f16_e32 v102, 0xbbf7, v27
	v_fmac_f16_e32 v104, 0x3a62, v16
	v_add_f16_e32 v101, v108, v101
	v_fmamk_f16 v108, v32, 0x3b76, v111
	v_add_f16_e32 v52, v52, v97
	v_fma_f16 v99, v36, 0xbacd, -v99
	v_fmac_f16_e32 v106, 0xb5c8, v28
	v_fmac_f16_e32 v53, 0xba62, v18
	v_add_f16_e32 v97, v108, v101
	v_fmamk_f16 v101, v33, 0xbbdd, v115
	v_mul_f16_e32 v108, 0x3964, v10
	v_add_f16_e32 v52, v102, v52
	v_mul_f16_e32 v102, 0xbbb2, v11
	v_add_f16_e32 v99, v1, v99
	v_add_f16_e32 v97, v101, v97
	v_fmamk_f16 v101, v34, 0x39e9, v108
	v_add_f16_e32 v52, v104, v52
	v_fma_f16 v104, v37, 0x3722, -v109
	v_add_f16_e32 v53, v38, v53
	v_fmac_f16_e32 v54, 0x3bb2, v19
	v_add_f16_e32 v97, v101, v97
	v_fmamk_f16 v101, v35, 0xb461, v102
	v_add_f16_e32 v106, v106, v52
	v_fmac_f16_e32 v85, 0xb5c8, v27
	v_add_f16_e32 v54, v54, v53
	v_fma_f16 v88, v36, 0xb8d2, -v88
	v_add_f16_e32 v52, v101, v97
	v_add_f16_e32 v97, v104, v99
	v_fma_f16 v99, v30, 0x2de8, -v112
	v_add_f16_e32 v54, v85, v54
	v_fmac_f16_e32 v87, 0xb836, v16
	v_add_f16_e32 v88, v1, v88
	v_fma_f16 v90, v37, 0xb461, -v90
	v_add_f16_e32 v97, v99, v97
	v_fma_f16 v99, v31, 0xb8d2, -v114
	v_add_f16_e32 v54, v87, v54
	v_fmac_f16_e32 v89, 0x3bf7, v28
	v_fma_f16 v87, v34, 0x39e9, -v108
	v_add_f16_e32 v88, v90, v88
	v_add_f16_e32 v97, v99, v97
	v_fma_f16 v99, v32, 0x3b76, -v111
	v_fma_f16 v90, v30, 0x3b76, -v93
	v_add_f16_e32 v54, v89, v54
	v_fmac_f16_e32 v91, 0xb964, v17
	v_fma_f16 v89, v31, 0xbacd, -v95
	v_add_f16_e32 v85, v99, v97
	v_fma_f16 v97, v33, 0xbbdd, -v115
	v_add_f16_e32 v88, v90, v88
	v_add_f16_e32 v90, v91, v54
	v_fmac_f16_e32 v55, 0xbbb2, v18
	v_fmac_f16_e32 v61, 0x3836, v19
	v_add_f16_e32 v85, v97, v85
	v_fma_f16 v75, v36, 0xb461, -v75
	v_mul_f16_e32 v107, 0x3b29, v11
	v_fmac_f16_e32 v73, 0x3964, v27
	v_fma_f16 v77, v37, 0xbacd, -v77
	v_add_f16_e32 v85, v87, v85
	v_fma_f16 v87, v35, 0xb461, -v102
	v_add_f16_e32 v75, v1, v75
	v_fmac_f16_e32 v74, 0xbb29, v16
	v_fmac_f16_e32 v68, 0xbbf7, v18
	v_fmac_f16_e32 v69, 0xb1e1, v19
	v_add_f16_e32 v54, v87, v85
	v_add_f16_e32 v85, v89, v88
	v_fma_f16 v87, v32, 0x2de8, -v96
	v_add_f16_e32 v89, v38, v55
	v_add_f16_e32 v75, v77, v75
	v_fma_f16 v77, v30, 0x39e9, -v79
	;; [unrolled: 3-line block ×3, first 2 shown]
	v_add_f16_e32 v61, v61, v89
	v_fmac_f16_e32 v67, 0x3bb2, v27
	v_add_f16_e32 v68, v69, v68
	v_fmac_f16_e32 v62, 0x35c8, v16
	v_add_f16_e32 v85, v87, v85
	v_fma_f16 v87, v34, 0xbbdd, -v103
	v_add_f16_e32 v61, v73, v61
	v_add_f16_e32 v67, v67, v68
	v_fmac_f16_e32 v59, 0xbb29, v28
	v_fma_f16 v65, v37, 0xbbdd, -v65
	v_add_f16_e32 v73, v87, v85
	v_fma_f16 v85, v35, 0x3722, -v107
	v_add_f16_e32 v74, v74, v61
	v_add_f16_e32 v62, v62, v67
	v_fmac_f16_e32 v57, 0xb836, v17
	v_fma_f16 v60, v30, 0xb461, -v60
	v_add_f16_e32 v61, v85, v73
	v_add_f16_e32 v73, v77, v75
	v_fma_f16 v75, v31, 0x3722, -v81
	v_add_f16_e32 v62, v59, v62
	v_fma_f16 v63, v31, 0x3b76, -v63
	v_fmac_f16_e32 v56, 0x3a62, v29
	v_fmac_f16_e32 v76, 0xb1e1, v28
	v_add_f16_e32 v73, v75, v73
	v_fma_f16 v75, v32, 0xbbdd, -v82
	v_add_f16_e32 v57, v57, v62
	v_fmac_f16_e32 v58, 0x3964, v14
	v_add_f16_e32 v74, v76, v74
	v_fmac_f16_e32 v78, 0x3bf7, v17
	v_add_f16_e32 v69, v75, v73
	v_fma_f16 v73, v33, 0x2de8, -v83
	v_add_f16_e32 v56, v56, v57
	v_fmac_f16_e32 v80, 0xb5c8, v29
	v_add_f16_e32 v74, v78, v74
	v_fmac_f16_e32 v84, 0xba62, v14
	v_add_f16_e32 v68, v73, v69
	v_fma_f16 v69, v34, 0x3b76, -v86
	v_fma_f16 v73, v36, 0x2de8, -v66
	v_add_f16_e32 v56, v58, v56
	v_add_f16_e32 v74, v80, v74
	v_mul_f16_e32 v76, 0x3bb2, v45
	v_add_f16_e32 v67, v69, v68
	v_add_f16_e32 v68, v1, v73
	v_fma_f16 v69, v35, 0xb8d2, -v92
	v_mul_f16_e32 v73, 0xbb29, v18
	v_add_f16_e32 v66, v84, v74
	v_mul_f16_e32 v74, 0x31e1, v46
	v_add_f16_e32 v65, v65, v68
	v_add_f16_e32 v59, v69, v67
	v_fmamk_f16 v62, v44, 0x3722, v73
	v_mul_f16_e32 v67, 0xba62, v19
	v_mul_f16_e32 v68, 0x31e1, v27
	v_add_f16_e32 v60, v60, v65
	v_fma_f16 v69, v35, 0x39e9, -v72
	v_add_f16_e32 v62, v38, v62
	v_fmamk_f16 v65, v43, 0xb8d2, v67
	v_mul_f16_e32 v72, 0xba62, v47
	v_add_f16_e32 v60, v63, v60
	v_fma_f16 v63, v32, 0x3722, -v64
	v_mul_f16_e32 v64, 0x3bb2, v16
	v_add_f16_e32 v57, v65, v62
	v_fmamk_f16 v62, v42, 0xbbdd, v68
	v_mul_f16_e32 v65, 0x3964, v28
	v_add_f16_e32 v60, v63, v60
	v_fma_f16 v63, v33, 0xbacd, -v70
	v_mul_f16_e32 v70, 0xbbf7, v29
	v_add_f16_e32 v57, v62, v57
	v_fmamk_f16 v62, v41, 0xb461, v64
	v_fmamk_f16 v58, v40, 0x39e9, v65
	v_add_f16_e32 v60, v63, v60
	v_fma_f16 v63, v34, 0xb8d2, -v71
	v_mul_f16_e32 v79, 0xbbf7, v19
	v_add_f16_e32 v57, v62, v57
	v_mul_f16_e32 v62, 0xb5c8, v17
	v_mul_f16_e32 v75, 0xbacd, v12
	v_add_f16_e32 v60, v63, v60
	v_mul_f16_e32 v63, 0xbb29, v48
	v_add_f16_e32 v57, v58, v57
	v_fmamk_f16 v58, v39, 0x3b76, v62
	v_mul_f16_e32 v80, 0x3964, v13
	v_add_f16_e32 v60, v69, v60
	v_fma_f16 v71, v36, 0x3722, -v63
	v_fmamk_f16 v81, v43, 0x2de8, v79
	v_add_f16_e32 v57, v58, v57
	v_fmamk_f16 v58, v15, 0x2de8, v70
	v_mul_f16_e32 v82, 0xba62, v27
	v_add_f16_e32 v69, v1, v71
	v_fma_f16 v71, v37, 0xb8d2, -v72
	v_fmamk_f16 v77, v14, 0xb836, v75
	v_add_f16_e32 v57, v58, v57
	v_mul_f16_e32 v58, 0xb964, v18
	v_mul_f16_e32 v83, 0xb5c8, v50
	v_add_f16_e32 v69, v71, v69
	v_fma_f16 v71, v30, 0xbbdd, -v74
	v_mul_f16_e32 v84, 0xb1e1, v16
	v_fmamk_f16 v78, v44, 0x39e9, v58
	v_fmac_f16_e32 v94, 0xb1e1, v29
	v_mul_f16_e32 v85, 0xbbf7, v10
	v_add_f16_e32 v69, v71, v69
	v_fma_f16 v71, v31, 0xb461, -v76
	v_add_f16_e32 v78, v38, v78
	v_mul_f16_e32 v86, 0x3836, v28
	v_add_f16_e32 v57, v77, v57
	v_pk_mul_f16 v77, 0x3b7639e9, v36
	v_add_f16_e32 v69, v71, v69
	v_fma_f16 v71, v32, 0x39e9, -v80
	v_add_f16_e32 v78, v81, v78
	v_fmamk_f16 v81, v42, 0xb8d2, v82
	v_add_f16_e32 v88, v94, v90
	v_pk_fma_f16 v89, 0xb964b5c8, v18, v77 op_sel:[0,0,1] op_sel_hi:[1,1,0]
	v_add_f16_e32 v69, v71, v69
	v_fma_f16 v71, v33, 0x3b76, -v83
	v_add_f16_e32 v78, v81, v78
	v_fmamk_f16 v81, v41, 0xbbdd, v84
	v_pk_fma_f16 v77, 0xb964b5c8, v18, v77 op_sel:[0,0,1] op_sel_hi:[1,1,0] neg_lo:[0,1,0] neg_hi:[0,1,0]
	v_pk_mul_f16 v90, 0x39e92de8, v37
	v_add_f16_e32 v69, v71, v69
	v_fma_f16 v71, v34, 0x2de8, -v85
	v_add_f16_e32 v78, v81, v78
	v_fmamk_f16 v81, v40, 0xbacd, v86
	v_fmac_f16_e32 v98, 0x3b29, v14
	v_mul_f16_e32 v87, 0x3bb2, v17
	v_add_f16_e32 v69, v71, v69
	v_pk_fma_f16 v91, 0xbbf7b964, v19, v90 op_sel:[0,0,1] op_sel_hi:[1,1,0]
	v_add_f16_e32 v71, v81, v78
	v_bfi_b32 v81, 0xffff, v89, v77
	v_pk_fma_f16 v90, 0xbbf7b964, v19, v90 op_sel:[0,0,1] op_sel_hi:[1,1,0] neg_lo:[0,1,0] neg_hi:[0,1,0]
	v_pk_mul_f16 v92, 0x3722b8d2, v30
	v_fmamk_f16 v113, v35, 0x3722, v107
	v_fmac_f16_e32 v105, 0xb1e1, v17
	v_add_f16_e32 v55, v98, v88
	v_mul_f16_e32 v88, 0xb836, v11
	v_fmamk_f16 v78, v39, 0xb461, v87
	v_mul_f16_e32 v93, 0x3b29, v29
	v_pk_add_f16 v81, v1, v81 op_sel:[1,0] op_sel_hi:[0,1]
	v_bfi_b32 v95, 0xffff, v91, v90
	v_pk_fma_f16 v96, 0xba62bb29, v27, v92 op_sel:[0,0,1] op_sel_hi:[1,1,0]
	v_pk_fma_f16 v92, 0xba62bb29, v27, v92 op_sel:[0,0,1] op_sel_hi:[1,1,0] neg_lo:[0,1,0] neg_hi:[0,1,0]
	v_pk_mul_f16 v97, 0x2de8bbdd, v31
	v_add_f16_e32 v49, v113, v49
	v_mul_f16_e32 v113, 0xb461, v12
	v_add_f16_e32 v101, v105, v106
	v_fmac_f16_e32 v110, 0x3964, v29
	v_fma_f16 v94, v35, 0xbacd, -v88
	v_add_f16_e32 v71, v78, v71
	v_fmamk_f16 v78, v15, 0x3722, v93
	v_pk_add_f16 v81, v95, v81
	v_bfi_b32 v95, 0xffff, v96, v92
	v_pk_fma_f16 v98, 0xb1e1bbf7, v16, v97 op_sel:[0,0,1] op_sel_hi:[1,1,0]
	v_pk_fma_f16 v97, 0xb1e1bbf7, v16, v97 op_sel:[0,0,1] op_sel_hi:[1,1,0] neg_lo:[0,1,0] neg_hi:[0,1,0]
	v_pk_mul_f16 v99, 0xb461bacd, v32
	v_fma_f16 v73, v44, 0x3722, -v73
	v_fma_f16 v44, v44, 0x39e9, -v58
	v_fmamk_f16 v116, v14, 0x3bb2, v113
	v_add_f16_e32 v101, v110, v101
	v_fmac_f16_e32 v113, 0xbbb2, v14
	v_add_f16_e32 v69, v94, v69
	v_add_f16_e32 v71, v78, v71
	v_pk_add_f16 v78, v95, v81
	v_bfi_b32 v81, 0xffff, v98, v97
	v_pk_fma_f16 v94, 0x3836bbb2, v28, v99 op_sel:[0,0,1] op_sel_hi:[1,1,0]
	v_pk_fma_f16 v95, 0x3836bbb2, v28, v99 op_sel:[0,0,1] op_sel_hi:[1,1,0] neg_lo:[0,1,0] neg_hi:[0,1,0]
	v_pk_mul_f16 v99, 0xb8d2b461, v33
	v_mul_f16_e32 v48, 0xb5c8, v48
	v_fma_f16 v67, v43, 0xb8d2, -v67
	v_fma_f16 v43, v43, 0x2de8, -v79
	v_add_f16_e32 v44, v38, v44
	v_add_f16_e32 v53, v113, v101
	v_pk_add_f16 v78, v81, v78
	v_bfi_b32 v81, 0xffff, v94, v95
	v_pk_fma_f16 v101, 0x3bb2ba62, v17, v99 op_sel:[0,0,1] op_sel_hi:[1,1,0]
	v_pk_fma_f16 v99, 0x3bb2ba62, v17, v99 op_sel:[0,0,1] op_sel_hi:[1,1,0] neg_lo:[0,1,0] neg_hi:[0,1,0]
	v_fma_f16 v102, v36, 0x3b76, -v48
	v_mul_f16_e32 v47, 0xb964, v47
	v_add_f16_e32 v73, v38, v73
	v_fma_f16 v68, v42, 0xbbdd, -v68
	v_add_f16_e32 v43, v43, v44
	v_fma_f16 v42, v42, 0xb8d2, -v82
	v_fmac_f16_e32 v48, 0x3b76, v36
	v_pk_add_f16 v78, v81, v78
	v_bfi_b32 v81, 0xffff, v101, v99
	v_add_f16_e32 v102, v1, v102
	v_fma_f16 v104, v37, 0x39e9, -v47
	v_mul_f16_e32 v46, 0xbb29, v46
	v_add_f16_e32 v67, v67, v73
	v_fma_f16 v64, v41, 0xb461, -v64
	v_add_f16_e32 v42, v42, v43
	v_fma_f16 v41, v41, 0xbbdd, -v84
	v_add_f16_e32 v48, v1, v48
	v_fmac_f16_e32 v47, 0x39e9, v37
	v_pk_add_f16 v78, v81, v78
	v_add_f16_e32 v81, v104, v102
	v_fma_f16 v102, v30, 0x3722, -v46
	v_mul_f16_e32 v45, 0xbbf7, v45
	v_add_f16_e32 v67, v68, v67
	v_fma_f16 v65, v40, 0x39e9, -v65
	v_add_f16_e32 v41, v41, v42
	v_fma_f16 v40, v40, 0xbacd, -v86
	v_pk_add_f16 v42, v1, v89 op_sel:[1,0] op_sel_hi:[0,1]
	v_add_f16_e32 v47, v47, v48
	v_fmac_f16_e32 v46, 0x3722, v30
	v_add_f16_e32 v81, v102, v81
	v_fma_f16 v102, v31, 0x2de8, -v45
	v_mul_f16_e32 v13, 0xbbb2, v13
	v_add_f16_e32 v64, v64, v67
	v_fma_f16 v62, v39, 0x3b76, -v62
	v_add_f16_e32 v40, v40, v41
	v_fma_f16 v39, v39, 0xb461, -v87
	v_pk_add_f16 v41, v91, v42
	v_add_f16_e32 v42, v46, v47
	v_fmac_f16_e32 v45, 0x2de8, v31
	v_add_f16_e32 v81, v102, v81
	v_fma_f16 v102, v32, 0xb461, -v13
	v_mul_f16_e32 v50, 0xba62, v50
	v_fmac_f16_e32 v63, 0x3722, v36
	v_add_f16_e32 v58, v65, v64
	v_mul_u32_u24_e32 v64, 0x44, v0
	v_add_f16_e32 v39, v39, v40
	v_pk_add_f16 v40, v96, v41
	v_add_f16_e32 v41, v45, v42
	v_fmac_f16_e32 v13, 0xb461, v32
	v_mul_f16_e32 v100, 0x35c8, v14
	v_add_f16_e32 v81, v102, v81
	v_fma_f16 v102, v33, 0xb8d2, -v50
	v_add_f16_e32 v63, v1, v63
	v_fmac_f16_e32 v72, 0xb8d2, v37
	v_mul_f16_e32 v10, 0xb836, v10
	v_add_f16_e32 v58, v62, v58
	v_add3_u32 v62, 0, v64, v26
	v_fma_f16 v64, v15, 0x2de8, -v70
	v_fma_f16 v15, v15, 0x3722, -v93
	v_add_f16_e32 v13, v13, v41
	v_fmac_f16_e32 v50, 0xb8d2, v33
	v_fmamk_f16 v103, v12, 0x3b76, v100
	v_add_f16_e32 v63, v72, v63
	v_fma_f16 v72, v34, 0xbacd, -v10
	v_add_f16_e32 v15, v15, v39
	v_fma_f16 v12, v12, 0x3b76, -v100
	v_pk_add_f16 v39, v98, v40
	v_pk_mul_f16 v36, 0xbbdd, v36 op_sel_hi:[0,1]
	v_add_f16_e32 v13, v50, v13
	v_fmac_f16_e32 v10, 0xbacd, v34
	v_fmac_f16_e32 v74, 0xbbdd, v30
	v_mul_f16_e32 v11, 0xb1e1, v11
	v_add_f16_e32 v12, v12, v15
	v_pk_add_f16 v15, v94, v39
	v_pk_fma_f16 v39, 0xb1e1, v18, v36 op_sel:[0,0,1] op_sel_hi:[0,1,0] neg_lo:[0,1,0] neg_hi:[0,1,0]
	v_pk_mul_f16 v37, 0x3b76, v37 op_sel_hi:[0,1]
	v_add_f16_e32 v10, v10, v13
	v_pk_fma_f16 v13, 0xb1e1, v18, v36 op_sel:[0,0,1] op_sel_hi:[0,1,0]
	v_add_f16_e32 v63, v74, v63
	v_fmac_f16_e32 v76, 0xb461, v31
	v_fma_f16 v68, v35, 0xbbdd, -v11
	v_fmac_f16_e32 v11, 0xbbdd, v35
	v_pk_add_f16 v18, v1, v39 op_sel:[1,0] op_sel_hi:[0,1]
	v_pk_fma_f16 v36, 0x35c8, v19, v37 op_sel:[0,0,1] op_sel_hi:[0,1,0] neg_lo:[0,1,0] neg_hi:[0,1,0]
	v_pk_mul_f16 v30, 0xbacd, v30 op_sel_hi:[0,1]
	v_pk_add_f16 v1, v1, v13 op_sel:[1,0] op_sel_hi:[0,1]
	v_pk_fma_f16 v13, 0x35c8, v19, v37 op_sel:[0,0,1] op_sel_hi:[0,1,0]
	v_add_f16_e32 v63, v76, v63
	v_fmac_f16_e32 v80, 0x39e9, v32
	v_add_f16_e32 v38, v38, v77
	v_add_f16_e32 v10, v11, v10
	v_pk_add_f16 v11, v36, v18
	v_pk_fma_f16 v18, 0xb836, v27, v30 op_sel:[0,0,1] op_sel_hi:[0,1,0] neg_lo:[0,1,0] neg_hi:[0,1,0]
	v_pk_mul_f16 v19, 0x39e9, v31 op_sel_hi:[0,1]
	v_pk_add_f16 v1, v13, v1
	v_pk_fma_f16 v13, 0xb836, v27, v30 op_sel:[0,0,1] op_sel_hi:[0,1,0]
	v_add_f16_e32 v63, v80, v63
	v_fmac_f16_e32 v83, 0x3b76, v33
	v_add_f16_e32 v38, v90, v38
	v_pk_add_f16 v11, v18, v11
	v_pk_fma_f16 v18, 0x3964, v16, v19 op_sel:[0,0,1] op_sel_hi:[0,1,0] neg_lo:[0,1,0] neg_hi:[0,1,0]
	v_pk_mul_f16 v30, 0xb8d2, v32 op_sel_hi:[0,1]
	v_pk_add_f16 v1, v13, v1
	v_pk_fma_f16 v13, 0x3964, v16, v19 op_sel:[0,0,1] op_sel_hi:[0,1,0]
	v_add_f16_e32 v71, v103, v71
	v_pk_mul_f16 v103, 0xbacd3722, v34
	v_add_f16_e32 v63, v83, v63
	v_fmac_f16_e32 v85, 0x2de8, v34
	v_add_f16_e32 v38, v92, v38
	v_pk_add_f16 v11, v18, v11
	v_pk_fma_f16 v18, 0xba62, v28, v30 op_sel:[0,0,1] op_sel_hi:[0,1,0] neg_lo:[0,1,0] neg_hi:[0,1,0]
	v_pk_mul_f16 v19, 0x3722, v33 op_sel_hi:[0,1]
	v_pk_add_f16 v1, v13, v1
	v_pk_fma_f16 v13, 0xba62, v28, v30 op_sel:[0,0,1] op_sel_hi:[0,1,0]
	v_pk_fma_f16 v104, 0x3b29b836, v29, v103 op_sel:[0,0,1] op_sel_hi:[1,1,0]
	v_pk_fma_f16 v103, 0x3b29b836, v29, v103 op_sel:[0,0,1] op_sel_hi:[1,1,0] neg_lo:[0,1,0] neg_hi:[0,1,0]
	v_pk_mul_f16 v105, 0xbbdd3b76, v35
	v_add_f16_e32 v44, v85, v63
	v_mul_f16_e32 v63, 0xb836, v14
	v_add_f16_e32 v38, v97, v38
	v_pk_add_f16 v15, v101, v15
	v_pk_add_f16 v11, v18, v11
	v_pk_fma_f16 v18, 0x3b29, v17, v19 op_sel:[0,0,1] op_sel_hi:[0,1,0] neg_lo:[0,1,0] neg_hi:[0,1,0]
	v_pk_mul_f16 v30, 0xb461, v34 op_sel_hi:[0,1]
	v_pk_add_f16 v1, v13, v1
	v_pk_fma_f16 v13, 0x3b29, v17, v19 op_sel:[0,0,1] op_sel_hi:[0,1,0]
	v_bfi_b32 v106, 0xffff, v104, v103
	v_pk_fma_f16 v107, 0x35c8b1e1, v14, v105 op_sel:[0,0,1] op_sel_hi:[1,1,0]
	v_pk_fma_f16 v108, 0x35c8b1e1, v14, v105 op_sel:[0,0,1] op_sel_hi:[1,1,0] neg_lo:[0,1,0] neg_hi:[0,1,0]
	v_add_f16_e32 v81, v102, v81
	v_pk_mul_f16 v43, 0x35c8b1e1, v14
	v_add_f16_e32 v38, v95, v38
	v_pk_add_f16 v11, v18, v11
	v_pk_fma_f16 v18, 0xbbb2, v29, v30 op_sel:[0,0,1] op_sel_hi:[0,1,0] neg_lo:[0,1,0] neg_hi:[0,1,0]
	v_pk_mul_f16 v19, 0x2de8, v35 op_sel_hi:[0,1]
	v_pk_add_f16 v1, v13, v1
	v_pk_fma_f16 v13, 0xbbb2, v29, v30 op_sel:[0,0,1] op_sel_hi:[0,1,0]
	v_bfi_b32 v30, 0xffff, v63, v15
	v_pk_add_f16 v78, v106, v78
	v_bfi_b32 v106, 0xffff, v107, v108
	v_add_f16_e32 v72, v72, v81
	v_add_f16_e32 v38, v99, v38
	v_pk_add_f16 v11, v18, v11
	v_pk_fma_f16 v18, 0x3bf7, v14, v19 op_sel:[0,0,1] op_sel_hi:[0,1,0] neg_lo:[0,1,0] neg_hi:[0,1,0]
	v_pk_add_f16 v1, v13, v1
	v_pk_fma_f16 v13, 0x3bf7, v14, v19 op_sel:[0,0,1] op_sel_hi:[0,1,0]
	v_pk_add_f16 v14, v75, v30 neg_lo:[0,1] neg_hi:[0,1]
	v_pk_add_f16 v15, v104, v15
	v_pack_b32_f16 v19, v64, v105
	v_bfi_b32 v30, 0xffff, v58, v43
	v_pk_add_f16 v73, v106, v78
	v_add_f16_e32 v67, v68, v72
	v_fmac_f16_e32 v88, 0xbacd, v35
	v_add_f16_e32 v38, v103, v38
	v_pack_b32_f16 v31, v54, v53
	v_pk_add_f16 v11, v18, v11
	v_pk_add_f16 v1, v13, v1
	v_bfi_b32 v13, 0xffff, v14, v15
	v_pk_add_f16 v14, v19, v30
	v_add_f16_e32 v51, v116, v51
	v_add_f16_e32 v44, v88, v44
	;; [unrolled: 1-line block ×3, first 2 shown]
	v_alignbit_b32 v27, v71, v73, 16
	v_pack_b32_f16 v16, v67, v73
	ds_store_2addr_b32 v62, v4, v31 offset1:7
	v_alignbit_b32 v4, v11, v1, 16
	v_alignbit_b32 v1, v1, v11, 16
	v_pk_add_f16 v11, v13, v14
	v_pack_b32_f16 v28, v60, v56
	v_pack_b32_f16 v17, v69, v57
	;; [unrolled: 1-line block ×8, first 2 shown]
	v_alignbit_b32 v7, v12, v11, 16
	v_pack_b32_f16 v8, v44, v11
	v_pack_b32_f16 v10, v10, v38
	ds_store_2addr_b32 v62, v16, v27 offset0:1 offset1:2
	ds_store_2addr_b32 v62, v17, v28 offset0:3 offset1:4
	;; [unrolled: 1-line block ×7, first 2 shown]
	ds_store_b32 v62, v10 offset:64
.LBB0_12:
	s_wait_alu 0xfffe
	s_or_b32 exec_lo, exec_lo, s1
	v_add_nc_u16 v1, v0, 34
	v_subrev_nc_u32_e32 v6, 17, v0
	v_add_nc_u16 v11, v0, 0xaa
	v_cmp_gt_u32_e64 s0, 17, v0
	v_add_nc_u16 v10, v0, 0x88
	v_dual_mov_b32 v5, 0 :: v_dual_and_b32 v4, 0xff, v1
	v_add_nc_u16 v9, v0, 0x66
	v_add_nc_u16 v12, v0, 0xcc
	v_add_nc_u16 v8, v0, 0x44
	s_delay_alu instid0(VALU_DEP_4)
	v_mul_lo_u16 v4, 0xf1, v4
	v_and_b32_e32 v16, 0xff, v10
	v_and_b32_e32 v15, 0xff, v9
	;; [unrolled: 1-line block ×4, first 2 shown]
	v_lshrrev_b16 v18, 12, v4
	s_wait_alu 0xf1ff
	v_cndmask_b32_e64 v4, v6, v0, s0
	v_and_b32_e32 v6, 0xff, v11
	v_mul_lo_u16 v19, 0xf1, v7
	v_mul_lo_u16 v15, 0xf1, v15
	;; [unrolled: 1-line block ×5, first 2 shown]
	v_lshrrev_b16 v19, 12, v19
	v_lshrrev_b16 v30, 12, v15
	v_sub_nc_u16 v1, v1, v14
	v_mul_lo_u16 v14, 0xf1, v16
	v_lshrrev_b16 v27, 12, v17
	v_lshrrev_b16 v29, 12, v13
	v_mul_lo_u16 v16, v19, 17
	v_mul_lo_u16 v15, v30, 17
	v_lshrrev_b16 v28, 12, v14
	v_mul_lo_u16 v14, v27, 17
	v_lshlrev_b64_e32 v[6:7], 2, v[4:5]
	v_sub_nc_u16 v12, v12, v16
	v_sub_nc_u16 v9, v9, v15
	v_mul_lo_u16 v13, v28, 17
	v_sub_nc_u16 v11, v11, v14
	v_mul_lo_u16 v14, v29, 17
	v_and_b32_e32 v12, 0xff, v12
	v_and_b32_e32 v9, 0xff, v9
	v_sub_nc_u16 v10, v10, v13
	v_and_b32_e32 v11, 0xff, v11
	v_sub_nc_u16 v8, v8, v14
	v_and_b32_e32 v1, 0xff, v1
	v_lshlrev_b32_e32 v32, 2, v12
	v_and_b32_e32 v10, 0xff, v10
	v_lshlrev_b32_e32 v31, 2, v11
	;; [unrolled: 2-line block ×3, first 2 shown]
	v_add_co_u32 v6, s0, s4, v6
	v_lshlrev_b32_e32 v33, 2, v10
	s_delay_alu instid0(VALU_DEP_4)
	v_lshlrev_b32_e32 v36, 2, v8
	v_lshlrev_b32_e32 v1, 2, v1
	s_wait_alu 0xf1ff
	v_add_co_ci_u32_e64 v7, s0, s5, v7, s0
	global_wb scope:SCOPE_SE
	s_wait_dscnt 0x0
	s_barrier_signal -1
	s_barrier_wait -1
	global_inv scope:SCOPE_SE
	s_clause 0x6
	global_load_b32 v34, v31, s[4:5]
	global_load_b32 v35, v32, s[4:5]
	;; [unrolled: 1-line block ×6, first 2 shown]
	global_load_b32 v42, v[6:7], off
	v_cmp_lt_u32_e64 s0, 16, v0
	ds_load_2addr_b32 v[6:7], v25 offset0:110 offset1:144
	ds_load_2addr_b32 v[8:9], v23 offset0:34 offset1:68
	;; [unrolled: 1-line block ×5, first 2 shown]
	v_and_b32_e32 v18, 0xffff, v18
	v_and_b32_e32 v29, 0xffff, v29
	s_wait_alu 0xf1ff
	v_cndmask_b32_e64 v16, 0, 0x88, s0
	v_and_b32_e32 v30, 0xffff, v30
	v_and_b32_e32 v28, 0xffff, v28
	;; [unrolled: 1-line block ×4, first 2 shown]
	v_add_nc_u32_e32 v44, 0, v16
	ds_load_b32 v45, v20
	ds_load_b32 v46, v23 offset:1768
	ds_load_2addr_b32 v[16:17], v24 offset0:118 offset1:152
	v_lshlrev_b32_e32 v4, 2, v4
	v_mad_u32_u24 v18, 0x88, v18, 0
	v_mad_u32_u24 v29, 0x88, v29, 0
	v_mad_u32_u24 v30, 0x88, v30, 0
	v_mad_u32_u24 v28, 0x88, v28, 0
	v_mad_u32_u24 v27, 0x88, v27, 0
	v_mad_u32_u24 v19, 0x88, v19, 0
	v_add3_u32 v4, v44, v4, v26
	v_add3_u32 v1, v18, v1, v26
	;; [unrolled: 1-line block ×7, first 2 shown]
	v_mul_u32_u24_e32 v43, 6, v0
	global_wb scope:SCOPE_SE
	s_wait_loadcnt_dscnt 0x0
	s_barrier_signal -1
	s_barrier_wait -1
	global_inv scope:SCOPE_SE
	v_lshlrev_b32_e32 v43, 2, v43
	v_pk_mul_f16 v31, v16, v38 op_sel:[0,1]
	v_pk_mul_f16 v32, v39, v11 op_sel:[0,1]
	;; [unrolled: 1-line block ×7, first 2 shown]
	s_delay_alu instid0(VALU_DEP_4)
	v_pk_fma_f16 v44, v46, v35, v26 op_sel:[0,0,1] op_sel_hi:[1,1,0] neg_lo:[0,0,1] neg_hi:[0,0,1]
	v_pk_fma_f16 v26, v46, v35, v26 op_sel:[0,0,1] op_sel_hi:[1,0,0]
	v_pk_fma_f16 v35, v17, v34, v30 op_sel:[0,0,1] op_sel_hi:[1,1,0] neg_lo:[0,0,1] neg_hi:[0,0,1]
	v_pk_fma_f16 v17, v17, v34, v30 op_sel:[0,0,1] op_sel_hi:[1,0,0]
	v_pk_fma_f16 v34, v42, v6, v37 op_sel:[0,0,1] op_sel_hi:[1,1,0] neg_lo:[0,0,1] neg_hi:[0,0,1]
	v_pk_fma_f16 v6, v42, v6, v37 op_sel:[0,0,1] op_sel_hi:[1,0,0]
	v_pk_fma_f16 v30, v16, v38, v31 op_sel:[0,0,1] op_sel_hi:[1,1,0] neg_lo:[0,0,1] neg_hi:[0,0,1]
	v_pk_fma_f16 v16, v16, v38, v31 op_sel:[0,0,1] op_sel_hi:[1,0,0]
	v_pk_fma_f16 v31, v39, v11, v32 op_sel:[0,0,1] op_sel_hi:[1,1,0] neg_lo:[0,0,1] neg_hi:[0,0,1]
	v_pk_fma_f16 v11, v39, v11, v32 op_sel:[0,0,1] op_sel_hi:[1,0,0]
	v_pk_fma_f16 v32, v40, v10, v33 op_sel:[0,0,1] op_sel_hi:[1,1,0] neg_lo:[0,0,1] neg_hi:[0,0,1]
	v_pk_fma_f16 v10, v40, v10, v33 op_sel:[0,0,1] op_sel_hi:[1,0,0]
	v_pk_fma_f16 v33, v41, v7, v36 op_sel:[0,0,1] op_sel_hi:[1,1,0] neg_lo:[0,0,1] neg_hi:[0,0,1]
	v_pk_fma_f16 v7, v41, v7, v36 op_sel:[0,0,1] op_sel_hi:[1,0,0]
	v_bfi_b32 v6, 0xffff, v34, v6
	v_bfi_b32 v11, 0xffff, v31, v11
	;; [unrolled: 1-line block ×7, first 2 shown]
	v_pk_add_f16 v6, v45, v6 neg_lo:[0,1] neg_hi:[0,1]
	v_pk_add_f16 v10, v9, v10 neg_lo:[0,1] neg_hi:[0,1]
	;; [unrolled: 1-line block ×7, first 2 shown]
	v_pk_fma_f16 v30, v45, 2.0, v6 op_sel_hi:[1,0,1] neg_lo:[0,0,1] neg_hi:[0,0,1]
	v_pk_fma_f16 v8, v8, 2.0, v7 op_sel_hi:[1,0,1] neg_lo:[0,0,1] neg_hi:[0,0,1]
	;; [unrolled: 1-line block ×7, first 2 shown]
	ds_store_2addr_b32 v4, v30, v6 offset1:17
	ds_store_2addr_b32 v1, v8, v7 offset1:17
	;; [unrolled: 1-line block ×7, first 2 shown]
	v_mov_b32_e32 v1, v5
	global_wb scope:SCOPE_SE
	s_wait_dscnt 0x0
	s_barrier_signal -1
	s_barrier_wait -1
	global_inv scope:SCOPE_SE
	s_clause 0x1
	global_load_b128 v[8:11], v43, s[4:5] offset:68
	global_load_b64 v[12:13], v43, s[4:5] offset:84
	ds_load_2addr_b32 v[14:15], v24 offset0:118 offset1:152
	ds_load_2addr_b32 v[16:17], v23 offset0:102 offset1:136
	ds_load_2addr_b32 v[18:19], v23 offset0:170 offset1:204
	ds_load_2addr_b32 v[26:27], v25 offset0:110 offset1:144
	ds_load_2addr_b32 v[28:29], v24 offset0:50 offset1:84
	v_lshlrev_b64_e32 v[4:5], 2, v[0:1]
	ds_load_b32 v1, v23 offset:1768
	ds_load_2addr_b32 v[30:31], v23 offset0:34 offset1:68
	ds_load_b32 v32, v20
	global_wb scope:SCOPE_SE
	s_wait_loadcnt_dscnt 0x0
	s_barrier_signal -1
	s_barrier_wait -1
	global_inv scope:SCOPE_SE
	v_add_co_u32 v6, s0, s4, v4
	s_wait_alu 0xf1ff
	v_add_co_ci_u32_e64 v7, s0, s5, v5, s0
	v_cmp_ne_u32_e64 s0, 0, v0
	v_lshrrev_b32_e32 v33, 16, v15
	v_lshrrev_b32_e32 v41, 16, v17
	v_lshrrev_b32_e32 v34, 16, v16
	v_lshrrev_b32_e32 v35, 16, v18
	v_lshrrev_b32_e32 v44, 16, v29
	v_lshrrev_b32_e32 v40, 16, v31
	v_lshrrev_b32_e32 v36, 16, v26
	v_lshrrev_b32_e32 v37, 16, v28
	v_lshrrev_b32_e32 v38, 16, v14
	v_lshrrev_b32_e32 v39, 16, v1
	v_lshrrev_b32_e32 v42, 16, v19
	v_lshrrev_b32_e32 v43, 16, v27
	v_lshrrev_b32_e32 v45, 16, v32
	v_lshrrev_b32_e32 v46, 16, v30
	v_lshrrev_b32_e32 v47, 16, v8
	v_lshrrev_b32_e32 v48, 16, v9
	v_lshrrev_b32_e32 v51, 16, v12
	v_lshrrev_b32_e32 v52, 16, v13
	v_lshrrev_b32_e32 v49, 16, v10
	v_lshrrev_b32_e32 v50, 16, v11
	v_mul_f16_e32 v53, v47, v40
	v_mul_f16_e32 v54, v47, v31
	;; [unrolled: 1-line block ×24, first 2 shown]
	v_fma_f16 v31, v8, v31, -v53
	v_fmac_f16_e32 v54, v8, v40
	v_fma_f16 v17, v9, v17, -v55
	v_fmac_f16_e32 v56, v9, v41
	v_fma_f16 v29, v12, v29, -v61
	v_fmac_f16_e32 v62, v12, v44
	v_fma_f16 v15, v15, v13, -v63
	v_fmac_f16_e32 v64, v33, v13
	v_fma_f16 v19, v10, v19, -v57
	v_fmac_f16_e32 v58, v10, v42
	v_fma_f16 v27, v11, v27, -v59
	v_fmac_f16_e32 v60, v11, v43
	v_fma_f16 v16, v16, v8, -v65
	v_fmac_f16_e32 v47, v34, v8
	v_fma_f16 v8, v18, v9, -v66
	v_fmac_f16_e32 v48, v35, v9
	v_fma_f16 v9, v26, v10, -v67
	v_fmac_f16_e32 v49, v36, v10
	v_fma_f16 v10, v28, v11, -v68
	v_fmac_f16_e32 v50, v37, v11
	v_fma_f16 v11, v14, v12, -v69
	v_fmac_f16_e32 v51, v38, v12
	v_fma_f16 v1, v1, v13, -v70
	v_fmac_f16_e32 v52, v39, v13
	v_add_f16_e32 v12, v31, v15
	v_add_f16_e32 v13, v54, v64
	;; [unrolled: 1-line block ×4, first 2 shown]
	v_sub_f16_e32 v14, v31, v15
	v_sub_f16_e32 v15, v54, v64
	;; [unrolled: 1-line block ×4, first 2 shown]
	v_add_f16_e32 v29, v19, v27
	v_add_f16_e32 v31, v58, v60
	v_sub_f16_e32 v19, v27, v19
	v_sub_f16_e32 v27, v60, v58
	v_add_f16_e32 v33, v16, v1
	v_add_f16_e32 v34, v47, v52
	;; [unrolled: 1-line block ×6, first 2 shown]
	v_sub_f16_e32 v1, v16, v1
	v_sub_f16_e32 v16, v47, v52
	v_sub_f16_e32 v8, v8, v11
	v_sub_f16_e32 v11, v48, v51
	v_add_f16_e32 v37, v9, v10
	v_sub_f16_e32 v9, v10, v9
	v_sub_f16_e32 v10, v50, v49
	v_add_f16_e32 v38, v49, v50
	v_sub_f16_e32 v41, v18, v12
	v_sub_f16_e32 v42, v26, v13
	;; [unrolled: 1-line block ×6, first 2 shown]
	v_add_f16_e32 v43, v19, v17
	v_add_f16_e32 v44, v27, v28
	v_sub_f16_e32 v47, v19, v17
	v_sub_f16_e32 v48, v27, v28
	v_sub_f16_e32 v17, v17, v14
	v_sub_f16_e32 v28, v28, v15
	v_add_f16_e32 v49, v35, v33
	v_add_f16_e32 v50, v36, v34
	;; [unrolled: 1-line block ×6, first 2 shown]
	v_sub_f16_e32 v55, v9, v8
	v_sub_f16_e32 v56, v10, v11
	;; [unrolled: 1-line block ×12, first 2 shown]
	v_add_f16_e32 v14, v43, v14
	v_add_f16_e32 v15, v44, v15
	v_mul_f16_e32 v12, 0x3a52, v12
	v_mul_f16_e32 v13, 0x3a52, v13
	;; [unrolled: 1-line block ×8, first 2 shown]
	v_add_f16_e32 v37, v37, v49
	v_add_f16_e32 v38, v38, v50
	;; [unrolled: 1-line block ×4, first 2 shown]
	v_sub_f16_e32 v9, v1, v9
	v_sub_f16_e32 v10, v16, v10
	v_add_f16_e32 v1, v53, v1
	v_add_f16_e32 v16, v54, v16
	v_mul_f16_e32 v53, 0xb846, v55
	v_mul_f16_e32 v54, 0xb846, v56
	;; [unrolled: 1-line block ×8, first 2 shown]
	v_fmamk_f16 v18, v18, 0x2b26, v12
	v_fmamk_f16 v26, v26, 0x2b26, v13
	v_fma_f16 v39, v41, 0x39e0, -v39
	v_fma_f16 v40, v42, 0x39e0, -v40
	;; [unrolled: 1-line block ×4, first 2 shown]
	v_fmamk_f16 v41, v19, 0x3574, v43
	v_fmamk_f16 v42, v27, 0x3574, v44
	v_fma_f16 v17, v17, 0x3b00, -v43
	v_fma_f16 v28, v28, 0x3b00, -v44
	;; [unrolled: 1-line block ×4, first 2 shown]
	v_add_f16_e32 v30, v37, v30
	v_add_f16_e32 v43, v38, v46
	v_fmamk_f16 v29, v29, 0xbcab, v32
	v_fmamk_f16 v31, v31, 0xbcab, v45
	;; [unrolled: 1-line block ×4, first 2 shown]
	v_fma_f16 v8, v8, 0x3b00, -v53
	v_fma_f16 v11, v11, 0x3b00, -v54
	;; [unrolled: 1-line block ×4, first 2 shown]
	v_fmamk_f16 v35, v35, 0x2b26, v33
	v_fmamk_f16 v36, v36, 0x2b26, v34
	v_fma_f16 v44, v51, 0x39e0, -v49
	v_fma_f16 v46, v52, 0x39e0, -v50
	;; [unrolled: 1-line block ×4, first 2 shown]
	v_fmac_f16_e32 v41, 0x370e, v14
	v_fmac_f16_e32 v42, 0x370e, v15
	;; [unrolled: 1-line block ×6, first 2 shown]
	v_fmamk_f16 v14, v37, 0xbcab, v30
	v_fmamk_f16 v15, v38, 0xbcab, v43
	v_add_f16_e32 v18, v18, v29
	v_add_f16_e32 v26, v26, v31
	v_fmac_f16_e32 v47, 0x370e, v1
	v_fmac_f16_e32 v48, 0x370e, v16
	;; [unrolled: 1-line block ×6, first 2 shown]
	v_pack_b32_f16 v1, v32, v45
	v_pack_b32_f16 v16, v30, v43
	v_add_f16_e32 v30, v39, v29
	v_add_f16_e32 v32, v40, v31
	;; [unrolled: 1-line block ×11, first 2 shown]
	v_sub_f16_e32 v34, v26, v41
	v_add_f16_e32 v37, v27, v12
	v_sub_f16_e32 v38, v13, v19
	v_sub_f16_e32 v39, v30, v28
	v_add_f16_e32 v40, v17, v32
	v_add_f16_e32 v28, v28, v30
	v_sub_f16_e32 v17, v32, v17
	v_sub_f16_e32 v12, v12, v27
	v_add_f16_e32 v13, v19, v13
	v_sub_f16_e32 v18, v18, v42
	v_add_f16_e32 v19, v41, v26
	v_add_f16_e32 v26, v48, v29
	v_sub_f16_e32 v27, v31, v47
	v_add_f16_e32 v30, v10, v14
	v_sub_f16_e32 v32, v15, v9
	v_sub_f16_e32 v41, v35, v11
	v_add_f16_e32 v42, v8, v36
	v_add_f16_e32 v11, v11, v35
	v_sub_f16_e32 v8, v36, v8
	v_sub_f16_e32 v10, v14, v10
	v_add_f16_e32 v9, v9, v15
	v_sub_f16_e32 v14, v29, v48
	v_add_f16_e32 v15, v47, v31
	v_pack_b32_f16 v29, v33, v34
	v_pack_b32_f16 v31, v37, v38
	;; [unrolled: 1-line block ×12, first 2 shown]
	ds_store_2addr_b32 v23, v1, v29 offset1:34
	ds_store_2addr_b32 v23, v31, v33 offset0:68 offset1:102
	ds_store_2addr_b32 v23, v17, v12 offset0:136 offset1:170
	;; [unrolled: 1-line block ×6, first 2 shown]
	global_wb scope:SCOPE_SE
	s_wait_dscnt 0x0
	s_barrier_signal -1
	s_barrier_wait -1
	global_inv scope:SCOPE_SE
	s_clause 0x6
	global_load_b32 v1, v[6:7], off offset:1700
	global_load_b32 v26, v[6:7], off offset:884
	;; [unrolled: 1-line block ×7, first 2 shown]
	ds_load_2addr_b32 v[8:9], v25 offset0:110 offset1:144
	ds_load_2addr_b32 v[10:11], v24 offset0:50 offset1:84
	;; [unrolled: 1-line block ×3, first 2 shown]
	ds_load_b32 v25, v23 offset:1768
	ds_load_b32 v32, v20
	ds_load_2addr_b32 v[14:15], v23 offset0:34 offset1:68
	ds_load_2addr_b32 v[16:17], v23 offset0:102 offset1:136
	;; [unrolled: 1-line block ×3, first 2 shown]
	global_wb scope:SCOPE_SE
	s_wait_loadcnt_dscnt 0x0
	s_barrier_signal -1
	s_barrier_wait -1
	global_inv scope:SCOPE_SE
	v_pk_mul_f16 v39, v25, v1 op_sel:[0,1]
	v_pk_mul_f16 v33, v26, v8 op_sel:[0,1]
	;; [unrolled: 1-line block ×7, first 2 shown]
	v_pk_fma_f16 v40, v26, v8, v33 op_sel:[0,0,1] op_sel_hi:[1,1,0] neg_lo:[0,0,1] neg_hi:[0,0,1]
	v_pk_fma_f16 v8, v26, v8, v33 op_sel:[0,0,1] op_sel_hi:[1,0,0]
	v_pk_fma_f16 v26, v27, v9, v34 op_sel:[0,0,1] op_sel_hi:[1,1,0] neg_lo:[0,0,1] neg_hi:[0,0,1]
	v_pk_fma_f16 v9, v27, v9, v34 op_sel:[0,0,1] op_sel_hi:[1,0,0]
	;; [unrolled: 2-line block ×7, first 2 shown]
	v_bfi_b32 v8, 0xffff, v40, v8
	v_bfi_b32 v9, 0xffff, v26, v9
	v_bfi_b32 v10, 0xffff, v27, v10
	v_bfi_b32 v11, 0xffff, v28, v11
	v_bfi_b32 v12, 0xffff, v29, v12
	v_bfi_b32 v13, 0xffff, v30, v13
	v_bfi_b32 v1, 0xffff, v31, v1
	v_pk_add_f16 v8, v32, v8 neg_lo:[0,1] neg_hi:[0,1]
	v_pk_add_f16 v9, v14, v9 neg_lo:[0,1] neg_hi:[0,1]
	;; [unrolled: 1-line block ×7, first 2 shown]
	v_pk_fma_f16 v25, v32, 2.0, v8 op_sel_hi:[1,0,1] neg_lo:[0,0,1] neg_hi:[0,0,1]
	v_pk_fma_f16 v14, v14, 2.0, v9 op_sel_hi:[1,0,1] neg_lo:[0,0,1] neg_hi:[0,0,1]
	;; [unrolled: 1-line block ×7, first 2 shown]
	ds_store_2addr_b32 v24, v9, v10 offset0:16 offset1:50
	ds_store_2addr_b32 v24, v11, v12 offset0:84 offset1:118
	;; [unrolled: 1-line block ×3, first 2 shown]
	ds_store_2addr_b32 v23, v25, v14 offset1:34
	ds_store_2addr_b32 v23, v15, v16 offset0:68 offset1:102
	ds_store_2addr_b32 v23, v17, v18 offset0:136 offset1:170
	;; [unrolled: 1-line block ×3, first 2 shown]
	global_wb scope:SCOPE_SE
	s_wait_dscnt 0x0
	s_barrier_signal -1
	s_barrier_wait -1
	global_inv scope:SCOPE_SE
	ds_load_b32 v11, v20
	v_sub_nc_u32_e32 v1, v22, v21
                                        ; implicit-def: $vgpr9
                                        ; implicit-def: $vgpr8
                                        ; implicit-def: $vgpr10
	s_and_saveexec_b32 s1, s0
	s_wait_alu 0xfffe
	s_xor_b32 s0, exec_lo, s1
	s_cbranch_execz .LBB0_14
; %bb.13:
	global_load_b32 v6, v[6:7], off offset:1836
	ds_load_b32 v7, v1 offset:1904
                                        ; implicit-def: $vgpr22
	s_wait_dscnt 0x0
	v_pk_add_f16 v8, v11, v7 neg_lo:[0,1] neg_hi:[0,1]
	v_pk_add_f16 v7, v7, v11
	s_delay_alu instid0(VALU_DEP_1) | instskip(SKIP_1) | instid1(VALU_DEP_2)
	v_bfi_b32 v9, 0xffff, v8, v7
	v_bfi_b32 v7, 0xffff, v7, v8
	v_pk_mul_f16 v9, v9, 0.5 op_sel_hi:[1,0]
	s_delay_alu instid0(VALU_DEP_2) | instskip(SKIP_1) | instid1(VALU_DEP_2)
	v_pk_mul_f16 v10, v7, 0.5 op_sel_hi:[1,0]
	s_wait_loadcnt 0x0
	v_pk_mul_f16 v8, v6, v9 op_sel:[1,0]
	v_pk_mul_f16 v6, v6, v9 op_sel_hi:[0,1]
	s_delay_alu instid0(VALU_DEP_3) | instskip(NEXT) | instid1(VALU_DEP_3)
	v_lshrrev_b32_e32 v9, 16, v10
	v_pk_fma_f16 v7, v7, 0.5, v8 op_sel_hi:[1,0,1]
	v_lshrrev_b32_e32 v11, 16, v8
	v_sub_f16_e32 v8, v10, v8
	v_lshrrev_b32_e32 v10, 16, v6
	s_delay_alu instid0(VALU_DEP_4) | instskip(SKIP_2) | instid1(VALU_DEP_4)
	v_pk_add_f16 v12, v7, v6 op_sel:[0,1] op_sel_hi:[1,0]
	v_pk_add_f16 v7, v7, v6 op_sel:[0,1] op_sel_hi:[1,0] neg_lo:[0,1] neg_hi:[0,1]
	v_sub_f16_e32 v11, v11, v9
	v_sub_f16_e32 v8, v8, v10
	s_delay_alu instid0(VALU_DEP_3) | instskip(NEXT) | instid1(VALU_DEP_3)
	v_bfi_b32 v9, 0xffff, v12, v7
	v_sub_f16_e32 v10, v11, v6
                                        ; implicit-def: $vgpr11
.LBB0_14:
	s_wait_alu 0xfffe
	s_and_not1_saveexec_b32 s0, s0
	s_cbranch_execz .LBB0_16
; %bb.15:
	ds_load_u16 v6, v22 offset:954
	s_wait_dscnt 0x1
	s_wait_alu 0xfffe
	v_alignbit_b32 v7, s0, v11, 16
	v_lshrrev_b32_e32 v8, 16, v11
	v_mov_b32_e32 v10, 0
	s_delay_alu instid0(VALU_DEP_3) | instskip(NEXT) | instid1(VALU_DEP_3)
	v_pk_add_f16 v7, v7, v11
	v_sub_f16_e32 v8, v11, v8
	s_delay_alu instid0(VALU_DEP_2)
	v_pack_b32_f16 v9, v7, 0
	s_wait_dscnt 0x0
	v_xor_b32_e32 v6, 0x8000, v6
	ds_store_b16 v22, v6 offset:954
.LBB0_16:
	s_wait_alu 0xfffe
	s_or_b32 exec_lo, exec_lo, s0
	s_add_nc_u64 s[0:1], s[4:5], 0x72c
	s_wait_alu 0xfffe
	v_add_co_u32 v6, s0, s0, v4
	s_wait_alu 0xf1ff
	v_add_co_ci_u32_e64 v7, s0, s1, v5, s0
	s_wait_dscnt 0x0
	s_clause 0x4
	global_load_b32 v11, v[6:7], off offset:136
	global_load_b32 v12, v[6:7], off offset:272
	global_load_b32 v13, v[6:7], off offset:408
	global_load_b32 v14, v[6:7], off offset:544
	global_load_b32 v15, v[6:7], off offset:680
	ds_store_b16 v1, v10 offset:1906
	ds_store_b32 v20, v9
	ds_store_b16 v1, v8 offset:1904
	ds_load_b32 v8, v20 offset:136
	ds_load_b32 v9, v1 offset:1768
	global_load_b32 v6, v[6:7], off offset:816
	s_wait_dscnt 0x0
	v_pk_add_f16 v7, v8, v9 neg_lo:[0,1] neg_hi:[0,1]
	v_pk_add_f16 v8, v8, v9
	s_delay_alu instid0(VALU_DEP_1) | instskip(SKIP_1) | instid1(VALU_DEP_2)
	v_bfi_b32 v9, 0xffff, v7, v8
	v_bfi_b32 v7, 0xffff, v8, v7
	v_pk_mul_f16 v8, v9, 0.5 op_sel_hi:[1,0]
	s_delay_alu instid0(VALU_DEP_2) | instskip(NEXT) | instid1(VALU_DEP_1)
	v_pk_mul_f16 v9, v7, 0.5 op_sel_hi:[1,0]
	v_lshrrev_b32_e32 v16, 16, v9
	s_wait_loadcnt 0x5
	s_delay_alu instid0(VALU_DEP_3) | instskip(SKIP_1) | instid1(VALU_DEP_2)
	v_pk_mul_f16 v10, v11, v8 op_sel:[1,0]
	v_pk_mul_f16 v8, v11, v8 op_sel_hi:[0,1]
	v_lshrrev_b32_e32 v11, 16, v10
	v_pk_fma_f16 v7, v7, 0.5, v10 op_sel_hi:[1,0,1]
	v_sub_f16_e32 v9, v9, v10
	s_delay_alu instid0(VALU_DEP_3) | instskip(NEXT) | instid1(VALU_DEP_3)
	v_sub_f16_e32 v11, v11, v16
	v_pk_add_f16 v10, v7, v8 op_sel:[0,1] op_sel_hi:[1,0]
	v_pk_add_f16 v7, v7, v8 op_sel:[0,1] op_sel_hi:[1,0] neg_lo:[0,1] neg_hi:[0,1]
	v_lshrrev_b32_e32 v16, 16, v8
	s_delay_alu instid0(VALU_DEP_4) | instskip(NEXT) | instid1(VALU_DEP_3)
	v_sub_f16_e32 v8, v11, v8
	v_bfi_b32 v7, 0xffff, v10, v7
	s_delay_alu instid0(VALU_DEP_3)
	v_sub_f16_e32 v9, v9, v16
	ds_store_b16 v1, v8 offset:1770
	ds_store_b32 v20, v7 offset:136
	ds_store_b16 v1, v9 offset:1768
	ds_load_b32 v7, v20 offset:272
	ds_load_b32 v8, v1 offset:1632
	s_wait_dscnt 0x0
	v_pk_add_f16 v9, v7, v8 neg_lo:[0,1] neg_hi:[0,1]
	v_pk_add_f16 v7, v7, v8
	s_delay_alu instid0(VALU_DEP_1) | instskip(SKIP_1) | instid1(VALU_DEP_2)
	v_bfi_b32 v8, 0xffff, v9, v7
	v_bfi_b32 v7, 0xffff, v7, v9
	v_pk_mul_f16 v8, v8, 0.5 op_sel_hi:[1,0]
	s_delay_alu instid0(VALU_DEP_2) | instskip(SKIP_1) | instid1(VALU_DEP_2)
	v_pk_mul_f16 v9, v7, 0.5 op_sel_hi:[1,0]
	s_wait_loadcnt 0x4
	v_pk_mul_f16 v10, v12, v8 op_sel:[1,0]
	v_pk_mul_f16 v8, v12, v8 op_sel_hi:[0,1]
	s_delay_alu instid0(VALU_DEP_3) | instskip(NEXT) | instid1(VALU_DEP_3)
	v_lshrrev_b32_e32 v11, 16, v9
	v_lshrrev_b32_e32 v12, 16, v10
	v_pk_fma_f16 v7, v7, 0.5, v10 op_sel_hi:[1,0,1]
	v_sub_f16_e32 v9, v9, v10
	s_delay_alu instid0(VALU_DEP_3) | instskip(NEXT) | instid1(VALU_DEP_3)
	v_sub_f16_e32 v11, v12, v11
	v_pk_add_f16 v10, v7, v8 op_sel:[0,1] op_sel_hi:[1,0]
	v_pk_add_f16 v7, v7, v8 op_sel:[0,1] op_sel_hi:[1,0] neg_lo:[0,1] neg_hi:[0,1]
	v_lshrrev_b32_e32 v12, 16, v8
	s_delay_alu instid0(VALU_DEP_4) | instskip(NEXT) | instid1(VALU_DEP_3)
	v_sub_f16_e32 v8, v11, v8
	v_bfi_b32 v7, 0xffff, v10, v7
	s_delay_alu instid0(VALU_DEP_3)
	v_sub_f16_e32 v9, v9, v12
	ds_store_b16 v1, v8 offset:1634
	ds_store_b32 v20, v7 offset:272
	ds_store_b16 v1, v9 offset:1632
	ds_load_b32 v7, v20 offset:408
	ds_load_b32 v8, v1 offset:1496
	s_wait_dscnt 0x0
	v_pk_add_f16 v9, v7, v8 neg_lo:[0,1] neg_hi:[0,1]
	v_pk_add_f16 v7, v7, v8
	s_delay_alu instid0(VALU_DEP_1) | instskip(SKIP_1) | instid1(VALU_DEP_2)
	v_bfi_b32 v8, 0xffff, v9, v7
	v_bfi_b32 v7, 0xffff, v7, v9
	v_pk_mul_f16 v8, v8, 0.5 op_sel_hi:[1,0]
	s_delay_alu instid0(VALU_DEP_2) | instskip(SKIP_1) | instid1(VALU_DEP_2)
	v_pk_mul_f16 v9, v7, 0.5 op_sel_hi:[1,0]
	s_wait_loadcnt 0x3
	v_pk_mul_f16 v10, v13, v8 op_sel:[1,0]
	s_delay_alu instid0(VALU_DEP_2) | instskip(SKIP_1) | instid1(VALU_DEP_3)
	v_lshrrev_b32_e32 v11, 16, v9
	v_pk_mul_f16 v8, v13, v8 op_sel_hi:[0,1]
	v_lshrrev_b32_e32 v12, 16, v10
	v_pk_fma_f16 v7, v7, 0.5, v10 op_sel_hi:[1,0,1]
	v_sub_f16_e32 v9, v9, v10
	s_delay_alu instid0(VALU_DEP_3) | instskip(NEXT) | instid1(VALU_DEP_3)
	v_sub_f16_e32 v11, v12, v11
	v_pk_add_f16 v10, v7, v8 op_sel:[0,1] op_sel_hi:[1,0]
	v_pk_add_f16 v7, v7, v8 op_sel:[0,1] op_sel_hi:[1,0] neg_lo:[0,1] neg_hi:[0,1]
	v_lshrrev_b32_e32 v12, 16, v8
	s_delay_alu instid0(VALU_DEP_4) | instskip(NEXT) | instid1(VALU_DEP_3)
	v_sub_f16_e32 v8, v11, v8
	v_bfi_b32 v7, 0xffff, v10, v7
	s_delay_alu instid0(VALU_DEP_3)
	v_sub_f16_e32 v9, v9, v12
	ds_store_b16 v1, v8 offset:1498
	ds_store_b32 v20, v7 offset:408
	ds_store_b16 v1, v9 offset:1496
	ds_load_b32 v7, v20 offset:544
	ds_load_b32 v8, v1 offset:1360
	s_wait_dscnt 0x0
	v_pk_add_f16 v9, v7, v8 neg_lo:[0,1] neg_hi:[0,1]
	v_pk_add_f16 v7, v7, v8
	s_delay_alu instid0(VALU_DEP_1) | instskip(SKIP_1) | instid1(VALU_DEP_2)
	v_bfi_b32 v8, 0xffff, v9, v7
	v_bfi_b32 v7, 0xffff, v7, v9
	v_pk_mul_f16 v8, v8, 0.5 op_sel_hi:[1,0]
	s_delay_alu instid0(VALU_DEP_2) | instskip(SKIP_1) | instid1(VALU_DEP_2)
	v_pk_mul_f16 v9, v7, 0.5 op_sel_hi:[1,0]
	s_wait_loadcnt 0x2
	v_pk_mul_f16 v10, v14, v8 op_sel:[1,0]
	s_delay_alu instid0(VALU_DEP_2) | instskip(SKIP_1) | instid1(VALU_DEP_3)
	v_lshrrev_b32_e32 v11, 16, v9
	v_pk_mul_f16 v8, v14, v8 op_sel_hi:[0,1]
	v_lshrrev_b32_e32 v12, 16, v10
	v_pk_fma_f16 v7, v7, 0.5, v10 op_sel_hi:[1,0,1]
	v_sub_f16_e32 v9, v9, v10
	s_delay_alu instid0(VALU_DEP_3) | instskip(NEXT) | instid1(VALU_DEP_3)
	v_sub_f16_e32 v11, v12, v11
	v_pk_add_f16 v10, v7, v8 op_sel:[0,1] op_sel_hi:[1,0]
	v_pk_add_f16 v7, v7, v8 op_sel:[0,1] op_sel_hi:[1,0] neg_lo:[0,1] neg_hi:[0,1]
	v_lshrrev_b32_e32 v12, 16, v8
	s_delay_alu instid0(VALU_DEP_4) | instskip(NEXT) | instid1(VALU_DEP_3)
	v_sub_f16_e32 v8, v11, v8
	v_bfi_b32 v7, 0xffff, v10, v7
	s_delay_alu instid0(VALU_DEP_3)
	v_sub_f16_e32 v9, v9, v12
	ds_store_b16 v1, v8 offset:1362
	ds_store_b32 v20, v7 offset:544
	ds_store_b16 v1, v9 offset:1360
	ds_load_b32 v7, v20 offset:680
	ds_load_b32 v8, v1 offset:1224
	s_wait_dscnt 0x0
	v_pk_add_f16 v9, v7, v8 neg_lo:[0,1] neg_hi:[0,1]
	v_pk_add_f16 v7, v7, v8
	s_delay_alu instid0(VALU_DEP_1) | instskip(SKIP_1) | instid1(VALU_DEP_2)
	v_bfi_b32 v8, 0xffff, v9, v7
	v_bfi_b32 v7, 0xffff, v7, v9
	v_pk_mul_f16 v8, v8, 0.5 op_sel_hi:[1,0]
	s_delay_alu instid0(VALU_DEP_2) | instskip(SKIP_1) | instid1(VALU_DEP_2)
	v_pk_mul_f16 v7, v7, 0.5 op_sel_hi:[1,0]
	s_wait_loadcnt 0x1
	v_pk_mul_f16 v10, v15, v8 op_sel_hi:[0,1]
	s_delay_alu instid0(VALU_DEP_2) | instskip(SKIP_2) | instid1(VALU_DEP_3)
	v_pk_fma_f16 v9, v15, v8, v7 op_sel:[1,0,0]
	v_pk_fma_f16 v11, v15, v8, v7 op_sel:[1,0,0] neg_lo:[1,0,0] neg_hi:[1,0,0]
	v_pk_fma_f16 v7, v15, v8, v7 op_sel:[1,0,0] neg_lo:[0,0,1] neg_hi:[0,0,1]
	v_pk_add_f16 v8, v9, v10 op_sel:[0,1] op_sel_hi:[1,0]
	v_pk_add_f16 v9, v9, v10 op_sel:[0,1] op_sel_hi:[1,0] neg_lo:[0,1] neg_hi:[0,1]
	s_delay_alu instid0(VALU_DEP_4) | instskip(NEXT) | instid1(VALU_DEP_4)
	v_pk_add_f16 v11, v11, v10 op_sel:[0,1] op_sel_hi:[1,0] neg_lo:[0,1] neg_hi:[0,1]
	v_pk_add_f16 v7, v7, v10 op_sel:[0,1] op_sel_hi:[1,0] neg_lo:[0,1] neg_hi:[0,1]
	s_delay_alu instid0(VALU_DEP_3) | instskip(NEXT) | instid1(VALU_DEP_2)
	v_bfi_b32 v8, 0xffff, v8, v9
	v_bfi_b32 v7, 0xffff, v11, v7
	ds_store_b32 v20, v8 offset:680
	ds_store_b32 v1, v7 offset:1224
	ds_load_b32 v7, v20 offset:816
	ds_load_b32 v8, v1 offset:1088
	s_wait_dscnt 0x0
	v_pk_add_f16 v9, v7, v8 neg_lo:[0,1] neg_hi:[0,1]
	v_pk_add_f16 v7, v7, v8
	s_delay_alu instid0(VALU_DEP_1) | instskip(SKIP_1) | instid1(VALU_DEP_2)
	v_bfi_b32 v8, 0xffff, v9, v7
	v_bfi_b32 v7, 0xffff, v7, v9
	v_pk_mul_f16 v8, v8, 0.5 op_sel_hi:[1,0]
	s_delay_alu instid0(VALU_DEP_2) | instskip(SKIP_1) | instid1(VALU_DEP_2)
	v_pk_mul_f16 v7, v7, 0.5 op_sel_hi:[1,0]
	s_wait_loadcnt 0x0
	v_pk_mul_f16 v10, v6, v8 op_sel_hi:[0,1]
	s_delay_alu instid0(VALU_DEP_2) | instskip(SKIP_2) | instid1(VALU_DEP_3)
	v_pk_fma_f16 v9, v6, v8, v7 op_sel:[1,0,0]
	v_pk_fma_f16 v11, v6, v8, v7 op_sel:[1,0,0] neg_lo:[1,0,0] neg_hi:[1,0,0]
	v_pk_fma_f16 v6, v6, v8, v7 op_sel:[1,0,0] neg_lo:[0,0,1] neg_hi:[0,0,1]
	v_pk_add_f16 v7, v9, v10 op_sel:[0,1] op_sel_hi:[1,0]
	v_pk_add_f16 v8, v9, v10 op_sel:[0,1] op_sel_hi:[1,0] neg_lo:[0,1] neg_hi:[0,1]
	s_delay_alu instid0(VALU_DEP_4) | instskip(NEXT) | instid1(VALU_DEP_4)
	v_pk_add_f16 v9, v11, v10 op_sel:[0,1] op_sel_hi:[1,0] neg_lo:[0,1] neg_hi:[0,1]
	v_pk_add_f16 v6, v6, v10 op_sel:[0,1] op_sel_hi:[1,0] neg_lo:[0,1] neg_hi:[0,1]
	s_delay_alu instid0(VALU_DEP_3) | instskip(NEXT) | instid1(VALU_DEP_2)
	v_bfi_b32 v7, 0xffff, v7, v8
	v_bfi_b32 v6, 0xffff, v9, v6
	ds_store_b32 v20, v7 offset:816
	ds_store_b32 v1, v6 offset:1088
	global_wb scope:SCOPE_SE
	s_wait_dscnt 0x0
	s_barrier_signal -1
	s_barrier_wait -1
	global_inv scope:SCOPE_SE
	s_and_saveexec_b32 s0, vcc_lo
	s_cbranch_execz .LBB0_19
; %bb.17:
	v_add_nc_u32_e32 v18, 0x400, v20
	ds_load_2addr_b32 v[6:7], v20 offset1:34
	ds_load_2addr_b32 v[8:9], v20 offset0:68 offset1:102
	ds_load_2addr_b32 v[10:11], v20 offset0:136 offset1:170
	;; [unrolled: 1-line block ×4, first 2 shown]
	v_add_co_u32 v1, vcc_lo, s8, v2
	ds_load_2addr_b32 v[16:17], v18 offset0:84 offset1:118
	ds_load_2addr_b32 v[18:19], v18 offset0:152 offset1:186
	s_wait_alu 0xfffd
	v_add_co_ci_u32_e32 v2, vcc_lo, s9, v3, vcc_lo
	v_add_co_u32 v3, vcc_lo, v1, v4
	s_wait_alu 0xfffd
	s_delay_alu instid0(VALU_DEP_2)
	v_add_co_ci_u32_e32 v4, vcc_lo, v2, v5, vcc_lo
	v_cmp_eq_u32_e32 vcc_lo, 33, v0
	s_wait_dscnt 0x6
	s_clause 0x1
	global_store_b32 v[3:4], v6, off
	global_store_b32 v[3:4], v7, off offset:136
	s_wait_dscnt 0x5
	s_clause 0x1
	global_store_b32 v[3:4], v8, off offset:272
	global_store_b32 v[3:4], v9, off offset:408
	s_wait_dscnt 0x4
	s_clause 0x1
	global_store_b32 v[3:4], v10, off offset:544
	;; [unrolled: 4-line block ×6, first 2 shown]
	global_store_b32 v[3:4], v19, off offset:1768
	s_and_b32 exec_lo, exec_lo, vcc_lo
	s_cbranch_execz .LBB0_19
; %bb.18:
	ds_load_b32 v0, v20 offset:1772
	s_wait_dscnt 0x0
	global_store_b32 v[1:2], v0, off offset:1904
.LBB0_19:
	s_nop 0
	s_sendmsg sendmsg(MSG_DEALLOC_VGPRS)
	s_endpgm
	.section	.rodata,"a",@progbits
	.p2align	6, 0x0
	.amdhsa_kernel fft_rtc_fwd_len476_factors_17_2_7_2_wgs_102_tpt_34_halfLds_half_ip_CI_unitstride_sbrr_R2C_dirReg
		.amdhsa_group_segment_fixed_size 0
		.amdhsa_private_segment_fixed_size 0
		.amdhsa_kernarg_size 88
		.amdhsa_user_sgpr_count 2
		.amdhsa_user_sgpr_dispatch_ptr 0
		.amdhsa_user_sgpr_queue_ptr 0
		.amdhsa_user_sgpr_kernarg_segment_ptr 1
		.amdhsa_user_sgpr_dispatch_id 0
		.amdhsa_user_sgpr_private_segment_size 0
		.amdhsa_wavefront_size32 1
		.amdhsa_uses_dynamic_stack 0
		.amdhsa_enable_private_segment 0
		.amdhsa_system_sgpr_workgroup_id_x 1
		.amdhsa_system_sgpr_workgroup_id_y 0
		.amdhsa_system_sgpr_workgroup_id_z 0
		.amdhsa_system_sgpr_workgroup_info 0
		.amdhsa_system_vgpr_workitem_id 0
		.amdhsa_next_free_vgpr 117
		.amdhsa_next_free_sgpr 32
		.amdhsa_reserve_vcc 1
		.amdhsa_float_round_mode_32 0
		.amdhsa_float_round_mode_16_64 0
		.amdhsa_float_denorm_mode_32 3
		.amdhsa_float_denorm_mode_16_64 3
		.amdhsa_fp16_overflow 0
		.amdhsa_workgroup_processor_mode 1
		.amdhsa_memory_ordered 1
		.amdhsa_forward_progress 0
		.amdhsa_round_robin_scheduling 0
		.amdhsa_exception_fp_ieee_invalid_op 0
		.amdhsa_exception_fp_denorm_src 0
		.amdhsa_exception_fp_ieee_div_zero 0
		.amdhsa_exception_fp_ieee_overflow 0
		.amdhsa_exception_fp_ieee_underflow 0
		.amdhsa_exception_fp_ieee_inexact 0
		.amdhsa_exception_int_div_zero 0
	.end_amdhsa_kernel
	.text
.Lfunc_end0:
	.size	fft_rtc_fwd_len476_factors_17_2_7_2_wgs_102_tpt_34_halfLds_half_ip_CI_unitstride_sbrr_R2C_dirReg, .Lfunc_end0-fft_rtc_fwd_len476_factors_17_2_7_2_wgs_102_tpt_34_halfLds_half_ip_CI_unitstride_sbrr_R2C_dirReg
                                        ; -- End function
	.section	.AMDGPU.csdata,"",@progbits
; Kernel info:
; codeLenInByte = 12492
; NumSgprs: 34
; NumVgprs: 117
; ScratchSize: 0
; MemoryBound: 0
; FloatMode: 240
; IeeeMode: 1
; LDSByteSize: 0 bytes/workgroup (compile time only)
; SGPRBlocks: 4
; VGPRBlocks: 14
; NumSGPRsForWavesPerEU: 34
; NumVGPRsForWavesPerEU: 117
; Occupancy: 12
; WaveLimiterHint : 1
; COMPUTE_PGM_RSRC2:SCRATCH_EN: 0
; COMPUTE_PGM_RSRC2:USER_SGPR: 2
; COMPUTE_PGM_RSRC2:TRAP_HANDLER: 0
; COMPUTE_PGM_RSRC2:TGID_X_EN: 1
; COMPUTE_PGM_RSRC2:TGID_Y_EN: 0
; COMPUTE_PGM_RSRC2:TGID_Z_EN: 0
; COMPUTE_PGM_RSRC2:TIDIG_COMP_CNT: 0
	.text
	.p2alignl 7, 3214868480
	.fill 96, 4, 3214868480
	.type	__hip_cuid_9f1255af538e0b16,@object ; @__hip_cuid_9f1255af538e0b16
	.section	.bss,"aw",@nobits
	.globl	__hip_cuid_9f1255af538e0b16
__hip_cuid_9f1255af538e0b16:
	.byte	0                               ; 0x0
	.size	__hip_cuid_9f1255af538e0b16, 1

	.ident	"AMD clang version 19.0.0git (https://github.com/RadeonOpenCompute/llvm-project roc-6.4.0 25133 c7fe45cf4b819c5991fe208aaa96edf142730f1d)"
	.section	".note.GNU-stack","",@progbits
	.addrsig
	.addrsig_sym __hip_cuid_9f1255af538e0b16
	.amdgpu_metadata
---
amdhsa.kernels:
  - .args:
      - .actual_access:  read_only
        .address_space:  global
        .offset:         0
        .size:           8
        .value_kind:     global_buffer
      - .offset:         8
        .size:           8
        .value_kind:     by_value
      - .actual_access:  read_only
        .address_space:  global
        .offset:         16
        .size:           8
        .value_kind:     global_buffer
      - .actual_access:  read_only
        .address_space:  global
        .offset:         24
        .size:           8
        .value_kind:     global_buffer
      - .offset:         32
        .size:           8
        .value_kind:     by_value
      - .actual_access:  read_only
        .address_space:  global
        .offset:         40
        .size:           8
        .value_kind:     global_buffer
      - .actual_access:  read_only
        .address_space:  global
        .offset:         48
        .size:           8
        .value_kind:     global_buffer
      - .offset:         56
        .size:           4
        .value_kind:     by_value
      - .actual_access:  read_only
        .address_space:  global
        .offset:         64
        .size:           8
        .value_kind:     global_buffer
      - .actual_access:  read_only
        .address_space:  global
        .offset:         72
        .size:           8
        .value_kind:     global_buffer
      - .address_space:  global
        .offset:         80
        .size:           8
        .value_kind:     global_buffer
    .group_segment_fixed_size: 0
    .kernarg_segment_align: 8
    .kernarg_segment_size: 88
    .language:       OpenCL C
    .language_version:
      - 2
      - 0
    .max_flat_workgroup_size: 102
    .name:           fft_rtc_fwd_len476_factors_17_2_7_2_wgs_102_tpt_34_halfLds_half_ip_CI_unitstride_sbrr_R2C_dirReg
    .private_segment_fixed_size: 0
    .sgpr_count:     34
    .sgpr_spill_count: 0
    .symbol:         fft_rtc_fwd_len476_factors_17_2_7_2_wgs_102_tpt_34_halfLds_half_ip_CI_unitstride_sbrr_R2C_dirReg.kd
    .uniform_work_group_size: 1
    .uses_dynamic_stack: false
    .vgpr_count:     117
    .vgpr_spill_count: 0
    .wavefront_size: 32
    .workgroup_processor_mode: 1
amdhsa.target:   amdgcn-amd-amdhsa--gfx1201
amdhsa.version:
  - 1
  - 2
...

	.end_amdgpu_metadata
